;; amdgpu-corpus repo=ROCm/rocFFT kind=compiled arch=gfx950 opt=O3
	.text
	.amdgcn_target "amdgcn-amd-amdhsa--gfx950"
	.amdhsa_code_object_version 6
	.protected	fft_rtc_fwd_len1620_factors_10_3_3_6_3_wgs_162_tpt_162_halfLds_sp_ip_CI_unitstride_sbrr_C2R_dirReg ; -- Begin function fft_rtc_fwd_len1620_factors_10_3_3_6_3_wgs_162_tpt_162_halfLds_sp_ip_CI_unitstride_sbrr_C2R_dirReg
	.globl	fft_rtc_fwd_len1620_factors_10_3_3_6_3_wgs_162_tpt_162_halfLds_sp_ip_CI_unitstride_sbrr_C2R_dirReg
	.p2align	8
	.type	fft_rtc_fwd_len1620_factors_10_3_3_6_3_wgs_162_tpt_162_halfLds_sp_ip_CI_unitstride_sbrr_C2R_dirReg,@function
fft_rtc_fwd_len1620_factors_10_3_3_6_3_wgs_162_tpt_162_halfLds_sp_ip_CI_unitstride_sbrr_C2R_dirReg: ; @fft_rtc_fwd_len1620_factors_10_3_3_6_3_wgs_162_tpt_162_halfLds_sp_ip_CI_unitstride_sbrr_C2R_dirReg
; %bb.0:
	s_load_dwordx2 s[4:5], s[0:1], 0x50
	s_load_dwordx4 s[8:11], s[0:1], 0x0
	s_load_dwordx2 s[6:7], s[0:1], 0x18
	v_mul_u32_u24_e32 v1, 0x195, v0
	v_add_u32_sdwa v6, s2, v1 dst_sel:DWORD dst_unused:UNUSED_PAD src0_sel:DWORD src1_sel:WORD_1
	v_mov_b32_e32 v4, 0
	s_waitcnt lgkmcnt(0)
	v_cmp_lt_u64_e64 s[2:3], s[10:11], 2
	v_mov_b32_e32 v7, v4
	s_and_b64 vcc, exec, s[2:3]
	v_mov_b64_e32 v[2:3], 0
	s_cbranch_vccnz .LBB0_8
; %bb.1:
	s_load_dwordx2 s[2:3], s[0:1], 0x10
	s_add_u32 s12, s6, 8
	s_addc_u32 s13, s7, 0
	s_mov_b64 s[14:15], 1
	v_mov_b64_e32 v[2:3], 0
	s_waitcnt lgkmcnt(0)
	s_add_u32 s16, s2, 8
	s_addc_u32 s17, s3, 0
.LBB0_2:                                ; =>This Inner Loop Header: Depth=1
	s_load_dwordx2 s[18:19], s[16:17], 0x0
                                        ; implicit-def: $vgpr8_vgpr9
	s_waitcnt lgkmcnt(0)
	v_or_b32_e32 v5, s19, v7
	v_cmp_ne_u64_e32 vcc, 0, v[4:5]
	s_and_saveexec_b64 s[2:3], vcc
	s_xor_b64 s[20:21], exec, s[2:3]
	s_cbranch_execz .LBB0_4
; %bb.3:                                ;   in Loop: Header=BB0_2 Depth=1
	v_cvt_f32_u32_e32 v1, s18
	v_cvt_f32_u32_e32 v5, s19
	s_sub_u32 s2, 0, s18
	s_subb_u32 s3, 0, s19
	v_fmac_f32_e32 v1, 0x4f800000, v5
	v_rcp_f32_e32 v1, v1
	s_nop 0
	v_mul_f32_e32 v1, 0x5f7ffffc, v1
	v_mul_f32_e32 v5, 0x2f800000, v1
	v_trunc_f32_e32 v5, v5
	v_fmac_f32_e32 v1, 0xcf800000, v5
	v_cvt_u32_f32_e32 v5, v5
	v_cvt_u32_f32_e32 v1, v1
	v_mul_lo_u32 v8, s2, v5
	v_mul_hi_u32 v10, s2, v1
	v_mul_lo_u32 v9, s3, v1
	v_add_u32_e32 v10, v10, v8
	v_mul_lo_u32 v12, s2, v1
	v_add_u32_e32 v13, v10, v9
	v_mul_hi_u32 v8, v1, v12
	v_mul_hi_u32 v11, v1, v13
	v_mul_lo_u32 v10, v1, v13
	v_mov_b32_e32 v9, v4
	v_lshl_add_u64 v[8:9], v[8:9], 0, v[10:11]
	v_mul_hi_u32 v11, v5, v12
	v_mul_lo_u32 v12, v5, v12
	v_add_co_u32_e32 v8, vcc, v8, v12
	v_mul_hi_u32 v10, v5, v13
	s_nop 0
	v_addc_co_u32_e32 v8, vcc, v9, v11, vcc
	v_mov_b32_e32 v9, v4
	s_nop 0
	v_addc_co_u32_e32 v11, vcc, 0, v10, vcc
	v_mul_lo_u32 v10, v5, v13
	v_lshl_add_u64 v[8:9], v[8:9], 0, v[10:11]
	v_add_co_u32_e32 v1, vcc, v1, v8
	v_mul_lo_u32 v10, s2, v1
	s_nop 0
	v_addc_co_u32_e32 v5, vcc, v5, v9, vcc
	v_mul_lo_u32 v8, s2, v5
	v_mul_hi_u32 v9, s2, v1
	v_add_u32_e32 v8, v9, v8
	v_mul_lo_u32 v9, s3, v1
	v_add_u32_e32 v12, v8, v9
	v_mul_hi_u32 v14, v5, v10
	v_mul_lo_u32 v15, v5, v10
	v_mul_hi_u32 v9, v1, v12
	v_mul_lo_u32 v8, v1, v12
	v_mul_hi_u32 v10, v1, v10
	v_mov_b32_e32 v11, v4
	v_lshl_add_u64 v[8:9], v[10:11], 0, v[8:9]
	v_add_co_u32_e32 v8, vcc, v8, v15
	v_mul_hi_u32 v13, v5, v12
	s_nop 0
	v_addc_co_u32_e32 v8, vcc, v9, v14, vcc
	v_mul_lo_u32 v10, v5, v12
	s_nop 0
	v_addc_co_u32_e32 v11, vcc, 0, v13, vcc
	v_mov_b32_e32 v9, v4
	v_lshl_add_u64 v[8:9], v[8:9], 0, v[10:11]
	v_add_co_u32_e32 v1, vcc, v1, v8
	v_mul_hi_u32 v10, v6, v1
	s_nop 0
	v_addc_co_u32_e32 v5, vcc, v5, v9, vcc
	v_mad_u64_u32 v[8:9], s[2:3], v6, v5, 0
	v_mov_b32_e32 v11, v4
	v_lshl_add_u64 v[8:9], v[10:11], 0, v[8:9]
	v_mad_u64_u32 v[12:13], s[2:3], v7, v1, 0
	v_add_co_u32_e32 v1, vcc, v8, v12
	v_mad_u64_u32 v[10:11], s[2:3], v7, v5, 0
	s_nop 0
	v_addc_co_u32_e32 v8, vcc, v9, v13, vcc
	v_mov_b32_e32 v9, v4
	s_nop 0
	v_addc_co_u32_e32 v11, vcc, 0, v11, vcc
	v_lshl_add_u64 v[8:9], v[8:9], 0, v[10:11]
	v_mul_lo_u32 v1, s19, v8
	v_mul_lo_u32 v5, s18, v9
	v_mad_u64_u32 v[10:11], s[2:3], s18, v8, 0
	v_add3_u32 v1, v11, v5, v1
	v_sub_u32_e32 v5, v7, v1
	v_mov_b32_e32 v11, s19
	v_sub_co_u32_e32 v14, vcc, v6, v10
	v_lshl_add_u64 v[12:13], v[8:9], 0, 1
	s_nop 0
	v_subb_co_u32_e64 v5, s[2:3], v5, v11, vcc
	v_subrev_co_u32_e64 v10, s[2:3], s18, v14
	v_subb_co_u32_e32 v1, vcc, v7, v1, vcc
	s_nop 0
	v_subbrev_co_u32_e64 v5, s[2:3], 0, v5, s[2:3]
	v_cmp_le_u32_e64 s[2:3], s19, v5
	v_cmp_le_u32_e32 vcc, s19, v1
	s_nop 0
	v_cndmask_b32_e64 v11, 0, -1, s[2:3]
	v_cmp_le_u32_e64 s[2:3], s18, v10
	s_nop 1
	v_cndmask_b32_e64 v10, 0, -1, s[2:3]
	v_cmp_eq_u32_e64 s[2:3], s19, v5
	s_nop 1
	v_cndmask_b32_e64 v5, v11, v10, s[2:3]
	v_lshl_add_u64 v[10:11], v[8:9], 0, 2
	v_cmp_ne_u32_e64 s[2:3], 0, v5
	s_nop 1
	v_cndmask_b32_e64 v5, v13, v11, s[2:3]
	v_cndmask_b32_e64 v11, 0, -1, vcc
	v_cmp_le_u32_e32 vcc, s18, v14
	s_nop 1
	v_cndmask_b32_e64 v13, 0, -1, vcc
	v_cmp_eq_u32_e32 vcc, s19, v1
	s_nop 1
	v_cndmask_b32_e32 v1, v11, v13, vcc
	v_cmp_ne_u32_e32 vcc, 0, v1
	v_cndmask_b32_e64 v1, v12, v10, s[2:3]
	s_nop 0
	v_cndmask_b32_e32 v9, v9, v5, vcc
	v_cndmask_b32_e32 v8, v8, v1, vcc
.LBB0_4:                                ;   in Loop: Header=BB0_2 Depth=1
	s_andn2_saveexec_b64 s[2:3], s[20:21]
	s_cbranch_execz .LBB0_6
; %bb.5:                                ;   in Loop: Header=BB0_2 Depth=1
	v_cvt_f32_u32_e32 v1, s18
	s_sub_i32 s20, 0, s18
	v_rcp_iflag_f32_e32 v1, v1
	s_nop 0
	v_mul_f32_e32 v1, 0x4f7ffffe, v1
	v_cvt_u32_f32_e32 v1, v1
	v_mul_lo_u32 v5, s20, v1
	v_mul_hi_u32 v5, v1, v5
	v_add_u32_e32 v1, v1, v5
	v_mul_hi_u32 v1, v6, v1
	v_mul_lo_u32 v5, v1, s18
	v_sub_u32_e32 v5, v6, v5
	v_add_u32_e32 v8, 1, v1
	v_subrev_u32_e32 v9, s18, v5
	v_cmp_le_u32_e32 vcc, s18, v5
	s_nop 1
	v_cndmask_b32_e32 v5, v5, v9, vcc
	v_cndmask_b32_e32 v1, v1, v8, vcc
	v_add_u32_e32 v8, 1, v1
	v_cmp_le_u32_e32 vcc, s18, v5
	v_mov_b32_e32 v9, v4
	s_nop 0
	v_cndmask_b32_e32 v8, v1, v8, vcc
.LBB0_6:                                ;   in Loop: Header=BB0_2 Depth=1
	s_or_b64 exec, exec, s[2:3]
	v_mad_u64_u32 v[10:11], s[2:3], v8, s18, 0
	s_load_dwordx2 s[2:3], s[12:13], 0x0
	v_mul_lo_u32 v1, v9, s18
	v_mul_lo_u32 v5, v8, s19
	v_add3_u32 v1, v11, v5, v1
	v_sub_co_u32_e32 v5, vcc, v6, v10
	s_add_u32 s14, s14, 1
	s_nop 0
	v_subb_co_u32_e32 v1, vcc, v7, v1, vcc
	s_addc_u32 s15, s15, 0
	s_waitcnt lgkmcnt(0)
	v_mul_lo_u32 v1, s2, v1
	v_mul_lo_u32 v6, s3, v5
	v_mad_u64_u32 v[2:3], s[2:3], s2, v5, v[2:3]
	s_add_u32 s12, s12, 8
	v_add3_u32 v3, v6, v3, v1
	s_addc_u32 s13, s13, 0
	v_mov_b64_e32 v[6:7], s[10:11]
	s_add_u32 s16, s16, 8
	v_cmp_ge_u64_e32 vcc, s[14:15], v[6:7]
	s_addc_u32 s17, s17, 0
	s_cbranch_vccnz .LBB0_9
; %bb.7:                                ;   in Loop: Header=BB0_2 Depth=1
	v_mov_b64_e32 v[6:7], v[8:9]
	s_branch .LBB0_2
.LBB0_8:
	v_mov_b64_e32 v[8:9], v[6:7]
.LBB0_9:
	s_lshl_b64 s[2:3], s[10:11], 3
	s_add_u32 s2, s6, s2
	s_addc_u32 s3, s7, s3
	s_load_dwordx2 s[6:7], s[2:3], 0x0
	s_load_dwordx2 s[10:11], s[0:1], 0x20
	s_mov_b32 s2, 0x1948b10
	s_waitcnt lgkmcnt(0)
	v_mul_lo_u32 v1, s6, v9
	v_mul_lo_u32 v4, s7, v8
	v_mad_u64_u32 v[2:3], s[0:1], s6, v8, v[2:3]
	v_add3_u32 v3, v4, v3, v1
	v_mul_hi_u32 v1, v0, s2
	v_mul_u32_u24_e32 v1, 0xa2, v1
	v_cmp_gt_u64_e64 s[0:1], s[10:11], v[8:9]
	v_sub_u32_e32 v16, v0, v1
	v_lshl_add_u64 v[18:19], v[2:3], 3, s[4:5]
	s_and_saveexec_b64 s[2:3], s[0:1]
	s_cbranch_execz .LBB0_13
; %bb.10:
	v_mov_b32_e32 v17, 0
	v_lshl_add_u64 v[0:1], v[16:17], 3, v[18:19]
	v_add_co_u32_e32 v10, vcc, 0x1000, v0
	global_load_dwordx2 v[2:3], v[0:1], off
	global_load_dwordx2 v[4:5], v[0:1], off offset:1296
	global_load_dwordx2 v[6:7], v[0:1], off offset:2592
	;; [unrolled: 1-line block ×3, first 2 shown]
	v_addc_co_u32_e32 v11, vcc, 0, v1, vcc
	v_add_co_u32_e32 v0, vcc, 0x2000, v0
	s_movk_i32 s4, 0xa1
	s_nop 0
	v_addc_co_u32_e32 v1, vcc, 0, v1, vcc
	global_load_dwordx2 v[12:13], v[10:11], off offset:1088
	global_load_dwordx2 v[14:15], v[10:11], off offset:2384
	;; [unrolled: 1-line block ×6, first 2 shown]
	v_lshl_add_u32 v0, v16, 3, 0
	v_cmp_eq_u32_e32 vcc, s4, v16
	v_add_u32_e32 v1, 0x800, v0
	v_add_u32_e32 v10, 0x1400, v0
	;; [unrolled: 1-line block ×4, first 2 shown]
	s_waitcnt vmcnt(8)
	ds_write2_b64 v0, v[2:3], v[4:5] offset1:162
	s_waitcnt vmcnt(6)
	ds_write2_b64 v1, v[6:7], v[8:9] offset0:68 offset1:230
	s_waitcnt vmcnt(4)
	ds_write2_b64 v10, v[12:13], v[14:15] offset0:8 offset1:170
	;; [unrolled: 2-line block ×4, first 2 shown]
	s_and_saveexec_b64 s[4:5], vcc
	s_cbranch_execz .LBB0_12
; %bb.11:
	v_add_co_u32_e32 v0, vcc, 0x3000, v18
	v_mov_b32_e32 v16, 0xa1
	s_nop 0
	v_addc_co_u32_e32 v1, vcc, 0, v19, vcc
	global_load_dwordx2 v[0:1], v[0:1], off offset:672
	s_waitcnt vmcnt(0)
	ds_write_b64 v17, v[0:1] offset:12960
.LBB0_12:
	s_or_b64 exec, exec, s[4:5]
.LBB0_13:
	s_or_b64 exec, exec, s[2:3]
	v_lshlrev_b32_e32 v0, 3, v16
	v_add_u32_e32 v31, 0, v0
	s_waitcnt lgkmcnt(0)
	s_barrier
	v_sub_u32_e32 v4, 0, v0
	ds_read_b32 v1, v31
	ds_read_b32 v2, v4 offset:12960
	s_add_u32 s2, s8, 0x3250
	s_addc_u32 s3, s9, 0
	v_cmp_ne_u32_e32 vcc, 0, v16
	s_waitcnt lgkmcnt(0)
	v_add_f32_e32 v0, v2, v1
	v_sub_f32_e32 v1, v1, v2
                                        ; implicit-def: $vgpr2_vgpr3
	s_and_saveexec_b64 s[4:5], vcc
	s_xor_b64 s[4:5], exec, s[4:5]
	s_cbranch_execz .LBB0_15
; %bb.14:
	v_mov_b32_e32 v17, 0
	v_lshl_add_u64 v[2:3], v[16:17], 3, s[2:3]
	global_load_dwordx2 v[6:7], v[2:3], off
	ds_read_b32 v5, v4 offset:12964
	ds_read_b32 v11, v31 offset:4
	v_mov_b32_e32 v8, v1
	v_mov_b32_e32 v10, v0
	;; [unrolled: 1-line block ×3, first 2 shown]
	v_mov_b64_e32 v[2:3], v[16:17]
	s_waitcnt lgkmcnt(0)
	v_add_f32_e32 v9, v5, v11
	v_sub_f32_e32 v11, v11, v5
	v_mov_b32_e32 v12, v9
	s_waitcnt vmcnt(0)
	v_pk_mul_f32 v[14:15], v[8:9], v[6:7] op_sel:[0,1]
	v_pk_fma_f32 v[8:9], v[8:9], v[6:7], v[10:11] op_sel:[0,1,0]
	v_mov_b32_e32 v1, v15
	v_mov_b32_e32 v15, v11
	v_pk_fma_f32 v[20:21], v[6:7], v[12:13], v[8:9] neg_lo:[1,0,0] neg_hi:[1,0,0]
	v_pk_fma_f32 v[8:9], v[6:7], v[12:13], v[8:9] op_sel_hi:[0,1,1]
	v_pk_add_f32 v[0:1], v[0:1], v[14:15] neg_lo:[0,1] neg_hi:[0,1]
	v_mov_b32_e32 v21, v9
	v_pk_fma_f32 v[0:1], v[6:7], v[12:13], v[0:1] op_sel_hi:[0,1,1]
	ds_write_b64 v4, v[0:1] offset:12960
	v_mov_b64_e32 v[0:1], v[20:21]
.LBB0_15:
	s_andn2_saveexec_b64 s[4:5], s[4:5]
	s_cbranch_execz .LBB0_17
; %bb.16:
	v_mov_b32_e32 v5, 0
	ds_read_b64 v[2:3], v5 offset:6480
	s_mov_b32 s6, 2.0
	s_mov_b32 s7, -2.0
	s_waitcnt lgkmcnt(0)
	v_pk_mul_f32 v[2:3], v[2:3], s[6:7]
	ds_write_b64 v5, v[2:3] offset:6480
	v_mov_b64_e32 v[2:3], 0
.LBB0_17:
	s_or_b64 exec, exec, s[4:5]
	v_lshl_add_u64 v[2:3], v[2:3], 3, s[2:3]
	global_load_dwordx2 v[6:7], v[2:3], off offset:1296
	global_load_dwordx2 v[8:9], v[2:3], off offset:2592
	;; [unrolled: 1-line block ×3, first 2 shown]
	s_movk_i32 s2, 0x1000
	v_add_co_u32_e32 v2, vcc, s2, v2
	ds_write_b64 v31, v[0:1]
	s_nop 0
	v_addc_co_u32_e32 v3, vcc, 0, v3, vcc
	global_load_dwordx2 v[2:3], v[2:3], off offset:1088
	ds_read_b64 v[0:1], v4 offset:11664
	ds_read_b64 v[12:13], v31 offset:1296
	v_add_u32_e32 v5, 0x800, v31
	v_add_u32_e32 v17, 0x1400, v31
	s_mov_b32 s6, 0x3f737871
	s_mov_b32 s4, 0x3f167918
	s_waitcnt lgkmcnt(0)
	v_pk_add_f32 v[14:15], v[12:13], v[0:1]
	v_pk_add_f32 v[0:1], v[12:13], v[0:1] neg_lo:[0,1] neg_hi:[0,1]
	v_mov_b32_e32 v12, v15
	v_mov_b32_e32 v13, v0
	;; [unrolled: 1-line block ×3, first 2 shown]
	s_movk_i32 s3, 0x48
	s_mov_b32 s2, 0x3e9e377a
	s_mov_b32 s10, 0x3f4f1bbd
	v_mad_u32_u24 v30, v16, s3, v31
	s_waitcnt vmcnt(3)
	v_pk_mul_f32 v[20:21], v[12:13], v[6:7] op_sel:[0,1]
	s_nop 0
	v_pk_add_f32 v[22:23], v[14:15], v[20:21] op_sel:[0,1] op_sel_hi:[1,0]
	v_mov_b32_e32 v15, v20
	v_mov_b32_e32 v0, v21
	v_pk_fma_f32 v[20:21], v[6:7], v[12:13], v[22:23] neg_lo:[1,0,0] neg_hi:[1,0,0]
	v_pk_fma_f32 v[22:23], v[6:7], v[12:13], v[22:23] op_sel_hi:[0,1,1]
	v_pk_add_f32 v[0:1], v[14:15], v[0:1] neg_lo:[0,1] neg_hi:[0,1]
	v_mov_b32_e32 v21, v23
	v_pk_fma_f32 v[0:1], v[6:7], v[12:13], v[0:1] op_sel_hi:[0,1,1]
	ds_write_b64 v31, v[20:21] offset:1296
	ds_write_b64 v4, v[0:1] offset:11664
	ds_read_b64 v[0:1], v4 offset:10368
	ds_read_b64 v[6:7], v31 offset:2592
	s_waitcnt lgkmcnt(0)
	v_pk_add_f32 v[12:13], v[6:7], v[0:1]
	v_pk_add_f32 v[0:1], v[6:7], v[0:1] neg_lo:[0,1] neg_hi:[0,1]
	v_mov_b32_e32 v6, v13
	v_mov_b32_e32 v7, v0
	;; [unrolled: 1-line block ×3, first 2 shown]
	s_waitcnt vmcnt(2)
	v_pk_mul_f32 v[14:15], v[6:7], v[8:9] op_sel:[0,1]
	s_nop 0
	v_pk_add_f32 v[20:21], v[12:13], v[14:15] op_sel:[0,1] op_sel_hi:[1,0]
	v_mov_b32_e32 v13, v14
	v_mov_b32_e32 v0, v15
	v_pk_fma_f32 v[14:15], v[8:9], v[6:7], v[20:21] neg_lo:[1,0,0] neg_hi:[1,0,0]
	v_pk_fma_f32 v[20:21], v[8:9], v[6:7], v[20:21] op_sel_hi:[0,1,1]
	v_pk_add_f32 v[0:1], v[12:13], v[0:1] neg_lo:[0,1] neg_hi:[0,1]
	v_mov_b32_e32 v15, v21
	v_pk_fma_f32 v[0:1], v[8:9], v[6:7], v[0:1] op_sel_hi:[0,1,1]
	ds_write_b64 v31, v[14:15] offset:2592
	ds_write_b64 v4, v[0:1] offset:10368
	ds_read_b64 v[0:1], v4 offset:9072
	ds_read_b64 v[6:7], v31 offset:3888
	v_add_u32_e32 v20, 0x1c00, v31
	v_add_u32_e32 v21, 0x2800, v31
	s_waitcnt lgkmcnt(0)
	v_pk_add_f32 v[8:9], v[6:7], v[0:1]
	v_pk_add_f32 v[0:1], v[6:7], v[0:1] neg_lo:[0,1] neg_hi:[0,1]
	v_mov_b32_e32 v6, v9
	v_mov_b32_e32 v7, v0
	;; [unrolled: 1-line block ×3, first 2 shown]
	s_waitcnt vmcnt(1)
	v_pk_mul_f32 v[12:13], v[6:7], v[10:11] op_sel:[0,1]
	s_nop 0
	v_pk_add_f32 v[14:15], v[8:9], v[12:13] op_sel:[0,1] op_sel_hi:[1,0]
	v_mov_b32_e32 v9, v12
	v_mov_b32_e32 v0, v13
	v_pk_fma_f32 v[12:13], v[10:11], v[6:7], v[14:15] neg_lo:[1,0,0] neg_hi:[1,0,0]
	v_pk_fma_f32 v[14:15], v[10:11], v[6:7], v[14:15] op_sel_hi:[0,1,1]
	v_pk_add_f32 v[0:1], v[8:9], v[0:1] neg_lo:[0,1] neg_hi:[0,1]
	v_mov_b32_e32 v13, v15
	v_pk_fma_f32 v[0:1], v[10:11], v[6:7], v[0:1] op_sel_hi:[0,1,1]
	ds_write_b64 v31, v[12:13] offset:3888
	ds_write_b64 v4, v[0:1] offset:9072
	ds_read_b64 v[0:1], v4 offset:7776
	ds_read_b64 v[6:7], v31 offset:5184
	s_waitcnt lgkmcnt(0)
	v_pk_add_f32 v[8:9], v[6:7], v[0:1]
	v_pk_add_f32 v[0:1], v[6:7], v[0:1] neg_lo:[0,1] neg_hi:[0,1]
	v_mov_b32_e32 v6, v9
	v_mov_b32_e32 v7, v0
	;; [unrolled: 1-line block ×3, first 2 shown]
	s_waitcnt vmcnt(0)
	v_pk_mul_f32 v[10:11], v[6:7], v[2:3] op_sel:[0,1]
	s_nop 0
	v_pk_add_f32 v[12:13], v[8:9], v[10:11] op_sel:[0,1] op_sel_hi:[1,0]
	v_mov_b32_e32 v9, v10
	v_mov_b32_e32 v0, v11
	v_pk_fma_f32 v[10:11], v[2:3], v[6:7], v[12:13] neg_lo:[1,0,0] neg_hi:[1,0,0]
	v_pk_fma_f32 v[12:13], v[2:3], v[6:7], v[12:13] op_sel_hi:[0,1,1]
	v_pk_add_f32 v[0:1], v[8:9], v[0:1] neg_lo:[0,1] neg_hi:[0,1]
	v_mov_b32_e32 v11, v13
	v_pk_fma_f32 v[0:1], v[2:3], v[6:7], v[0:1] op_sel_hi:[0,1,1]
	ds_write_b64 v31, v[10:11] offset:5184
	ds_write_b64 v4, v[0:1] offset:7776
	s_waitcnt lgkmcnt(0)
	s_barrier
	s_barrier
	ds_read2_b64 v[0:3], v31 offset1:162
	ds_read2_b64 v[4:7], v5 offset0:68 offset1:230
	ds_read2_b64 v[8:11], v17 offset0:8 offset1:170
	;; [unrolled: 1-line block ×4, first 2 shown]
	s_waitcnt lgkmcnt(0)
	v_pk_add_f32 v[24:25], v[0:1], v[4:5]
	v_pk_add_f32 v[28:29], v[2:3], v[6:7]
	;; [unrolled: 1-line block ×3, first 2 shown]
	v_pk_add_f32 v[36:37], v[8:9], v[12:13] neg_lo:[0,1] neg_hi:[0,1]
	v_pk_add_f32 v[38:39], v[4:5], v[8:9] neg_lo:[0,1] neg_hi:[0,1]
	v_pk_add_f32 v[42:43], v[4:5], v[20:21] neg_lo:[0,1] neg_hi:[0,1]
	v_pk_add_f32 v[44:45], v[4:5], v[20:21]
	v_pk_add_f32 v[4:5], v[8:9], v[4:5] neg_lo:[0,1] neg_hi:[0,1]
	v_pk_add_f32 v[8:9], v[24:25], v[8:9]
	v_pk_add_f32 v[32:33], v[6:7], v[10:11] neg_lo:[0,1] neg_hi:[0,1]
	v_pk_add_f32 v[34:35], v[22:23], v[14:15] neg_lo:[0,1] neg_hi:[0,1]
	v_pk_add_f32 v[40:41], v[20:21], v[12:13] neg_lo:[0,1] neg_hi:[0,1]
	v_pk_add_f32 v[24:25], v[28:29], v[10:11]
	v_pk_add_f32 v[8:9], v[8:9], v[12:13]
	v_pk_add_f32 v[46:47], v[12:13], v[20:21] neg_lo:[0,1] neg_hi:[0,1]
	v_pk_add_f32 v[28:29], v[32:33], v[34:35]
	v_pk_add_f32 v[32:33], v[38:39], v[40:41]
	;; [unrolled: 1-line block ×4, first 2 shown]
	v_pk_add_f32 v[20:21], v[6:7], v[22:23] neg_lo:[0,1] neg_hi:[0,1]
	v_pk_add_f32 v[38:39], v[10:11], v[14:15] neg_lo:[0,1] neg_hi:[0,1]
	v_pk_add_f32 v[40:41], v[6:7], v[22:23]
	v_pk_add_f32 v[6:7], v[10:11], v[6:7] neg_lo:[0,1] neg_hi:[0,1]
	v_pk_add_f32 v[10:11], v[10:11], v[14:15]
	v_pk_fma_f32 v[26:27], v[26:27], 0.5, v[0:1] op_sel_hi:[1,0,1] neg_lo:[1,0,0] neg_hi:[1,0,0]
	v_pk_fma_f32 v[0:1], v[44:45], 0.5, v[0:1] op_sel_hi:[1,0,1] neg_lo:[1,0,0] neg_hi:[1,0,0]
	v_pk_add_f32 v[12:13], v[12:13], v[22:23]
	v_pk_fma_f32 v[40:41], v[40:41], 0.5, v[2:3] op_sel_hi:[1,0,1] neg_lo:[1,0,0] neg_hi:[1,0,0]
	v_pk_mul_f32 v[44:45], v[38:39], s[6:7] op_sel_hi:[1,0]
	v_pk_add_f32 v[22:23], v[14:15], v[22:23] neg_lo:[0,1] neg_hi:[0,1]
	v_pk_fma_f32 v[2:3], v[10:11], 0.5, v[2:3] op_sel_hi:[1,0,1] neg_lo:[1,0,0] neg_hi:[1,0,0]
	v_pk_add_f32 v[4:5], v[4:5], v[46:47]
	v_pk_mul_f32 v[46:47], v[20:21], s[4:5] op_sel_hi:[1,0]
	v_pk_add_f32 v[6:7], v[6:7], v[22:23]
	v_pk_fma_f32 v[10:11], v[20:21], s[6:7], v[2:3] op_sel:[0,0,1] op_sel_hi:[1,0,0]
	v_pk_fma_f32 v[2:3], v[20:21], s[6:7], v[2:3] op_sel:[0,0,1] op_sel_hi:[1,0,0] neg_lo:[1,0,0] neg_hi:[1,0,0]
	v_pk_add_f32 v[20:21], v[40:41], v[44:45] op_sel:[0,1] op_sel_hi:[1,0] neg_lo:[0,1] neg_hi:[0,1]
	v_pk_add_f32 v[22:23], v[40:41], v[44:45] op_sel:[0,1] op_sel_hi:[1,0]
	v_pk_fma_f32 v[2:3], v[38:39], s[4:5], v[2:3] op_sel_hi:[1,0,1] neg_lo:[1,0,0] neg_hi:[1,0,0]
	v_pk_fma_f32 v[10:11], v[38:39], s[4:5], v[10:11] op_sel_hi:[1,0,1]
	v_pk_add_f32 v[22:23], v[22:23], v[46:47] op_sel:[0,1] op_sel_hi:[1,0] neg_lo:[0,1] neg_hi:[0,1]
	v_pk_add_f32 v[38:39], v[20:21], v[46:47] op_sel:[0,1] op_sel_hi:[1,0]
	v_mov_b32_e32 v21, v23
	v_mov_b32_e32 v20, v38
	v_pk_fma_f32 v[20:21], v[6:7], s[2:3], v[20:21] op_sel_hi:[1,0,1]
	v_pk_mul_f32 v[34:35], v[42:43], s[4:5] op_sel_hi:[1,0]
	v_pk_mul_f32 v[40:41], v[20:21], s[6:7] op_sel_hi:[1,0]
	;; [unrolled: 1-line block ×3, first 2 shown]
	v_pk_fma_f32 v[44:45], v[20:21], s[2:3], v[40:41] op_sel:[0,0,1] op_sel_hi:[1,0,0]
	v_pk_fma_f32 v[20:21], v[20:21], s[2:3], v[40:41] op_sel:[0,0,1] op_sel_hi:[1,0,0] neg_lo:[0,0,1] neg_hi:[0,0,1]
	v_mov_b32_e32 v14, v10
	v_mov_b32_e32 v45, v21
	v_pk_mul_f32 v[20:21], v[42:43], s[6:7] op_sel_hi:[1,0]
	v_mov_b32_e32 v15, v3
	v_pk_add_f32 v[40:41], v[26:27], v[20:21] op_sel:[0,1] op_sel_hi:[1,0] neg_lo:[0,1] neg_hi:[0,1]
	v_pk_add_f32 v[20:21], v[26:27], v[20:21] op_sel:[0,1] op_sel_hi:[1,0]
	v_pk_fma_f32 v[40:41], v[36:37], s[4:5], v[40:41] op_sel:[1,0,0] op_sel_hi:[0,0,1] neg_lo:[1,0,0] neg_hi:[1,0,0]
	v_pk_fma_f32 v[26:27], v[36:37], s[4:5], v[20:21] op_sel:[1,0,0] op_sel_hi:[0,0,1]
	v_mov_b32_e32 v20, v40
	v_mov_b32_e32 v21, v27
	v_pk_fma_f32 v[42:43], v[32:33], s[2:3], v[20:21] op_sel_hi:[1,0,1]
	v_pk_fma_f32 v[20:21], v[36:37], s[6:7], v[0:1] op_sel:[1,0,0] op_sel_hi:[0,0,1] neg_lo:[1,0,0] neg_hi:[1,0,0]
	v_pk_fma_f32 v[0:1], v[36:37], s[6:7], v[0:1] op_sel:[1,0,0] op_sel_hi:[0,0,1]
	v_pk_add_f32 v[0:1], v[0:1], v[34:35] op_sel:[0,1] op_sel_hi:[1,0] neg_lo:[0,1] neg_hi:[0,1]
	v_pk_add_f32 v[34:35], v[20:21], v[34:35] op_sel:[0,1] op_sel_hi:[1,0]
	v_mov_b32_e32 v21, v1
	v_mov_b32_e32 v20, v34
	v_pk_add_f32 v[14:15], v[24:25], v[14:15] op_sel:[1,0] op_sel_hi:[0,1]
	v_pk_fma_f32 v[36:37], v[4:5], s[2:3], v[20:21] op_sel_hi:[1,0,1]
	v_pk_add_f32 v[10:11], v[24:25], v[10:11] op_sel:[1,0] op_sel_hi:[0,1]
	s_mov_b32 s5, 0xbf167918
	v_pk_mul_f32 v[20:21], v[14:15], s[10:11] op_sel_hi:[1,0]
	s_mov_b32 s11, s4
	v_pk_add_f32 v[2:3], v[24:25], v[2:3] op_sel:[1,0] op_sel_hi:[0,1]
	v_pk_fma_f32 v[14:15], v[14:15], s[4:5], v[20:21] op_sel:[0,0,1] op_sel_hi:[1,1,0] neg_lo:[0,0,1] neg_hi:[0,0,1]
	v_mov_b32_e32 v27, v41
	v_pk_mul_f32 v[10:11], v[10:11], s[10:11] op_sel:[1,0]
	s_mov_b32 s5, s10
	v_pk_fma_f32 v[26:27], v[32:33], s[2:3], v[26:27] op_sel_hi:[1,0,1]
	v_pk_fma_f32 v[32:33], v[2:3], s[4:5], v[10:11]
	v_pk_fma_f32 v[2:3], v[2:3], s[4:5], v[10:11] op_sel_hi:[0,1,1] neg_lo:[0,0,1] neg_hi:[0,0,1]
	v_mov_b32_e32 v33, v3
	v_pk_add_f32 v[28:29], v[8:9], v[12:13]
	v_pk_add_f32 v[2:3], v[26:27], v[32:33]
	v_mov_b32_e32 v23, v39
	s_barrier
	ds_write2_b64 v30, v[28:29], v[2:3] offset1:1
	v_pk_fma_f32 v[2:3], v[6:7], s[2:3], v[22:23] op_sel_hi:[1,0,1]
	s_mov_b32 s4, 0xbf737871
	s_mov_b32 s5, s6
	v_pk_mul_f32 v[6:7], v[2:3], s[2:3] op_sel_hi:[1,0]
	v_mov_b32_e32 v1, v35
	v_pk_fma_f32 v[2:3], v[2:3], s[4:5], v[6:7] op_sel:[0,0,1] op_sel_hi:[1,1,0] neg_lo:[0,0,1] neg_hi:[0,0,1]
	v_pk_fma_f32 v[0:1], v[4:5], s[2:3], v[0:1] op_sel_hi:[1,0,1]
	v_pk_add_f32 v[24:25], v[36:37], v[44:45]
	v_pk_add_f32 v[4:5], v[0:1], v[2:3] op_sel:[0,1] op_sel_hi:[1,0]
	v_pk_add_f32 v[20:21], v[42:43], v[14:15] neg_lo:[0,1] neg_hi:[0,1]
	ds_write2_b64 v30, v[24:25], v[4:5] offset0:2 offset1:3
	v_pk_add_f32 v[4:5], v[42:43], v[14:15]
	v_pk_add_f32 v[6:7], v[8:9], v[12:13] neg_lo:[0,1] neg_hi:[0,1]
	v_pk_add_f32 v[0:1], v[0:1], v[2:3] op_sel:[0,1] op_sel_hi:[1,0] neg_lo:[0,1] neg_hi:[0,1]
	ds_write2_b64 v30, v[4:5], v[6:7] offset0:4 offset1:5
	v_pk_add_f32 v[4:5], v[26:27], v[32:33] neg_lo:[0,1] neg_hi:[0,1]
	v_pk_add_f32 v[6:7], v[36:37], v[44:45] neg_lo:[0,1] neg_hi:[0,1]
	ds_write2_b64 v30, v[0:1], v[20:21] offset0:8 offset1:9
	v_add_u32_e32 v0, 0xa00, v31
	v_add_u32_e32 v8, 0x2000, v31
	ds_write2_b64 v30, v[4:5], v[6:7] offset0:6 offset1:7
	s_waitcnt lgkmcnt(0)
	s_barrier
	ds_read2_b64 v[4:7], v31 offset1:162
	ds_read2_b64 v[0:3], v0 offset0:4 offset1:220
	ds_read2_b64 v[8:11], v8 offset0:56 offset1:218
	;; [unrolled: 1-line block ×3, first 2 shown]
	ds_read_b64 v[22:23], v31 offset:11232
	v_cmp_gt_u32_e64 s[2:3], 54, v16
                                        ; implicit-def: $vgpr28
                                        ; implicit-def: $vgpr24
                                        ; implicit-def: $vgpr26
                                        ; implicit-def: $vgpr30
	s_and_saveexec_b64 s[4:5], s[2:3]
	s_cbranch_execz .LBB0_19
; %bb.18:
	ds_read_b64 v[24:25], v31 offset:8208
	ds_read_b64 v[26:27], v31 offset:12528
	;; [unrolled: 1-line block ×3, first 2 shown]
	s_waitcnt lgkmcnt(2)
	v_mov_b32_e32 v28, v25
	s_waitcnt lgkmcnt(1)
	v_mov_b32_e32 v30, v27
.LBB0_19:
	s_or_b64 exec, exec, s[4:5]
	s_movk_i32 s4, 0xcd
	v_add_u32_e32 v32, 0x144, v16
	v_mul_lo_u16_sdwa v25, v16, s4 dst_sel:DWORD dst_unused:UNUSED_PAD src0_sel:BYTE_0 src1_sel:DWORD
	s_mov_b32 s4, 0xcccd
	v_mul_u32_u24_sdwa v27, v32, s4 dst_sel:DWORD dst_unused:UNUSED_PAD src0_sel:WORD_0 src1_sel:DWORD
	v_lshrrev_b32_e32 v27, 19, v27
	v_add_u32_e32 v17, 0x1e6, v16
	v_mul_lo_u16_e32 v29, 10, v27
	v_add_u32_e32 v33, 0xa2, v16
	v_sub_u16_e32 v35, v32, v29
	v_mul_u32_u24_sdwa v29, v17, s4 dst_sel:DWORD dst_unused:UNUSED_PAD src0_sel:WORD_0 src1_sel:DWORD
	v_lshrrev_b32_e32 v29, 19, v29
	v_mul_u32_u24_sdwa v44, v33, s4 dst_sel:DWORD dst_unused:UNUSED_PAD src0_sel:WORD_0 src1_sel:DWORD
	v_mul_lo_u16_e32 v34, 10, v29
	v_lshrrev_b32_e32 v52, 19, v44
	v_sub_u16_e32 v34, v17, v34
	v_mul_lo_u16_e32 v44, 10, v52
	v_lshrrev_b16_e32 v25, 11, v25
	v_lshlrev_b32_e32 v36, 4, v34
	v_sub_u16_e32 v53, v33, v44
	v_mul_lo_u16_e32 v48, 10, v25
	global_load_dwordx4 v[36:39], v36, s[8:9]
	v_lshlrev_b32_e32 v40, 4, v35
	global_load_dwordx4 v[40:43], v40, s[8:9]
	v_lshlrev_b32_e32 v44, 4, v53
	v_sub_u16_e32 v54, v16, v48
	v_mov_b32_e32 v48, 4
	global_load_dwordx4 v[44:47], v44, s[8:9]
	v_lshlrev_b32_sdwa v48, v48, v54 dst_sel:DWORD dst_unused:UNUSED_PAD src0_sel:DWORD src1_sel:BYTE_0
	global_load_dwordx4 v[48:51], v48, s[8:9]
	v_mov_b32_e32 v55, 3
	v_mul_u32_u24_e32 v25, 0xf0, v25
	v_mul_u32_u24_e32 v52, 0xf0, v52
	v_lshlrev_b32_sdwa v54, v55, v54 dst_sel:DWORD dst_unused:UNUSED_PAD src0_sel:DWORD src1_sel:BYTE_0
	v_lshlrev_b32_e32 v53, 3, v53
	v_mul_u32_u24_e32 v27, 0xf0, v27
	v_lshlrev_b32_e32 v35, 3, v35
	v_add3_u32 v62, 0, v25, v54
	v_add3_u32 v63, 0, v52, v53
	;; [unrolled: 1-line block ×3, first 2 shown]
	s_mov_b32 s4, 0x3f5db3d7
	s_waitcnt lgkmcnt(0)
	s_barrier
	s_waitcnt vmcnt(3)
	v_pk_mul_f32 v[52:53], v[28:29], v[36:37] op_sel_hi:[0,1]
	v_pk_mul_f32 v[54:55], v[30:31], v[38:39] op_sel_hi:[0,1]
	s_waitcnt vmcnt(2)
	v_pk_mul_f32 v[56:57], v[40:41], v[14:15] op_sel:[0,1]
	v_pk_mul_f32 v[58:59], v[42:43], v[22:23] op_sel:[0,1]
	v_pk_fma_f32 v[60:61], v[24:25], v[36:37], v[52:53] op_sel:[0,0,1] op_sel_hi:[1,1,0] neg_lo:[0,0,1] neg_hi:[0,0,1]
	v_pk_fma_f32 v[24:25], v[24:25], v[36:37], v[52:53] op_sel:[0,0,1] op_sel_hi:[0,1,0]
	v_pk_fma_f32 v[36:37], v[26:27], v[38:39], v[54:55] op_sel:[0,0,1] op_sel_hi:[1,1,0] neg_lo:[0,0,1] neg_hi:[0,0,1]
	v_pk_fma_f32 v[26:27], v[26:27], v[38:39], v[54:55] op_sel:[0,0,1] op_sel_hi:[0,1,0]
	s_waitcnt vmcnt(1)
	v_pk_mul_f32 v[38:39], v[44:45], v[12:13] op_sel:[0,1]
	v_pk_mul_f32 v[52:53], v[46:47], v[10:11] op_sel:[0,1]
	v_pk_fma_f32 v[54:55], v[42:43], v[22:23], v[58:59] op_sel:[0,0,1] op_sel_hi:[1,1,0] neg_lo:[0,0,1] neg_hi:[0,0,1]
	v_pk_fma_f32 v[22:23], v[42:43], v[22:23], v[58:59] op_sel:[0,0,1] op_sel_hi:[1,0,0]
	v_pk_fma_f32 v[42:43], v[40:41], v[14:15], v[56:57] op_sel:[0,0,1] op_sel_hi:[1,1,0] neg_lo:[0,0,1] neg_hi:[0,0,1]
	v_pk_fma_f32 v[14:15], v[40:41], v[14:15], v[56:57] op_sel:[0,0,1] op_sel_hi:[1,0,0]
	s_waitcnt vmcnt(0)
	v_pk_mul_f32 v[40:41], v[48:49], v[2:3] op_sel:[0,1]
	v_pk_fma_f32 v[56:57], v[44:45], v[12:13], v[38:39] op_sel:[0,0,1] op_sel_hi:[1,1,0] neg_lo:[0,0,1] neg_hi:[0,0,1]
	v_pk_fma_f32 v[12:13], v[44:45], v[12:13], v[38:39] op_sel:[0,0,1] op_sel_hi:[1,0,0]
	v_pk_mul_f32 v[38:39], v[50:51], v[8:9] op_sel:[0,1]
	v_pk_fma_f32 v[44:45], v[46:47], v[10:11], v[52:53] op_sel:[0,0,1] op_sel_hi:[1,1,0] neg_lo:[0,0,1] neg_hi:[0,0,1]
	v_pk_fma_f32 v[10:11], v[46:47], v[10:11], v[52:53] op_sel:[0,0,1] op_sel_hi:[1,0,0]
	v_pk_fma_f32 v[46:47], v[48:49], v[2:3], v[40:41] op_sel:[0,0,1] op_sel_hi:[1,1,0] neg_lo:[0,0,1] neg_hi:[0,0,1]
	v_pk_fma_f32 v[2:3], v[48:49], v[2:3], v[40:41] op_sel:[0,0,1] op_sel_hi:[1,0,0]
	;; [unrolled: 2-line block ×3, first 2 shown]
	v_mov_b32_e32 v61, v25
	v_mov_b32_e32 v37, v27
	;; [unrolled: 1-line block ×7, first 2 shown]
	v_pk_add_f32 v[2:3], v[20:21], v[60:61]
	v_pk_add_f32 v[8:9], v[60:61], v[36:37]
	v_pk_add_f32 v[10:11], v[60:61], v[36:37] neg_lo:[0,1] neg_hi:[0,1]
	v_mov_b32_e32 v55, v23
	v_pk_add_f32 v[12:13], v[0:1], v[42:43]
	v_pk_add_f32 v[14:15], v[6:7], v[56:57]
	;; [unrolled: 1-line block ×5, first 2 shown]
	v_pk_fma_f32 v[2:3], v[8:9], 0.5, v[20:21] op_sel_hi:[1,0,1] neg_lo:[1,0,0] neg_hi:[1,0,0]
	v_pk_mul_f32 v[8:9], v[10:11], s[4:5] op_sel_hi:[1,0]
	v_pk_add_f32 v[10:11], v[12:13], v[54:55]
	v_pk_add_f32 v[12:13], v[14:15], v[44:45]
	;; [unrolled: 1-line block ×3, first 2 shown]
	v_pk_add_f32 v[24:25], v[2:3], v[8:9] op_sel:[0,1] op_sel_hi:[1,0]
	v_pk_add_f32 v[26:27], v[2:3], v[8:9] op_sel:[0,1] op_sel_hi:[1,0] neg_lo:[0,1] neg_hi:[0,1]
	v_pk_fma_f32 v[2:3], v[38:39], 0.5, v[4:5] op_sel_hi:[1,0,1] neg_lo:[1,0,0] neg_hi:[1,0,0]
	v_pk_add_f32 v[4:5], v[46:47], v[40:41] neg_lo:[0,1] neg_hi:[0,1]
	v_mov_b32_e32 v20, v26
	v_pk_mul_f32 v[4:5], v[4:5], s[4:5] op_sel_hi:[1,0]
	v_mov_b32_e32 v21, v25
	v_pk_add_f32 v[8:9], v[2:3], v[4:5] op_sel:[0,1] op_sel_hi:[1,0]
	v_pk_add_f32 v[2:3], v[2:3], v[4:5] op_sel:[0,1] op_sel_hi:[1,0] neg_lo:[0,1] neg_hi:[0,1]
	v_mov_b32_e32 v4, v8
	v_mov_b32_e32 v5, v3
	;; [unrolled: 1-line block ×3, first 2 shown]
	ds_write2_b64 v62, v[14:15], v[4:5] offset1:10
	ds_write_b64 v62, v[2:3] offset:160
	v_pk_add_f32 v[2:3], v[56:57], v[44:45]
	v_pk_add_f32 v[4:5], v[56:57], v[44:45] neg_lo:[0,1] neg_hi:[0,1]
	v_pk_fma_f32 v[2:3], v[2:3], 0.5, v[6:7] op_sel_hi:[1,0,1] neg_lo:[1,0,0] neg_hi:[1,0,0]
	v_pk_mul_f32 v[4:5], v[4:5], s[4:5] op_sel_hi:[1,0]
	s_nop 0
	v_pk_add_f32 v[6:7], v[2:3], v[4:5] op_sel:[0,1] op_sel_hi:[1,0]
	v_pk_add_f32 v[2:3], v[2:3], v[4:5] op_sel:[0,1] op_sel_hi:[1,0] neg_lo:[0,1] neg_hi:[0,1]
	v_mov_b32_e32 v4, v6
	v_mov_b32_e32 v5, v3
	;; [unrolled: 1-line block ×3, first 2 shown]
	ds_write_b64 v63, v[2:3] offset:160
	v_pk_add_f32 v[2:3], v[42:43], v[54:55]
	ds_write2_b64 v63, v[12:13], v[4:5] offset1:10
	v_pk_fma_f32 v[0:1], v[2:3], 0.5, v[0:1] op_sel_hi:[1,0,1] neg_lo:[1,0,0] neg_hi:[1,0,0]
	v_pk_add_f32 v[2:3], v[42:43], v[54:55] neg_lo:[0,1] neg_hi:[0,1]
	s_nop 0
	v_pk_mul_f32 v[2:3], v[2:3], s[4:5] op_sel_hi:[1,0]
	s_nop 0
	v_pk_add_f32 v[4:5], v[0:1], v[2:3] op_sel:[0,1] op_sel_hi:[1,0]
	v_pk_add_f32 v[0:1], v[0:1], v[2:3] op_sel:[0,1] op_sel_hi:[1,0] neg_lo:[0,1] neg_hi:[0,1]
	v_mov_b32_e32 v2, v4
	v_mov_b32_e32 v3, v1
	v_mov_b32_e32 v1, v5
	ds_write2_b64 v35, v[10:11], v[2:3] offset1:10
	ds_write_b64 v35, v[0:1] offset:160
	s_and_saveexec_b64 s[4:5], s[2:3]
	s_cbranch_execz .LBB0_21
; %bb.20:
	v_mul_lo_u16_e32 v0, 30, v29
	v_lshlrev_b32_e32 v1, 3, v34
	v_lshlrev_b32_e32 v0, 3, v0
	v_add3_u32 v0, 0, v1, v0
	v_mov_b32_e32 v25, v27
	ds_write2_b64 v0, v[22:23], v[24:25] offset1:10
	ds_write_b64 v0, v[20:21] offset:160
.LBB0_21:
	s_or_b64 exec, exec, s[4:5]
	v_add_u32_e32 v0, 0xa00, v31
	v_add_u32_e32 v8, 0x2000, v31
	v_add_u32_e32 v12, 0x1400, v31
	s_waitcnt lgkmcnt(0)
	s_barrier
	ds_read2_b64 v[4:7], v31 offset1:162
	ds_read2_b64 v[0:3], v0 offset0:4 offset1:220
	ds_read2_b64 v[8:11], v8 offset0:56 offset1:218
	;; [unrolled: 1-line block ×3, first 2 shown]
	ds_read_b64 v[28:29], v31 offset:11232
	s_and_saveexec_b64 s[4:5], s[2:3]
	s_cbranch_execz .LBB0_23
; %bb.22:
	ds_read_b64 v[22:23], v31 offset:3888
	ds_read_b64 v[26:27], v31 offset:8208
	ds_read_b64 v[20:21], v31 offset:12528
	s_waitcnt lgkmcnt(1)
	v_mov_b32_e32 v24, v26
.LBB0_23:
	s_or_b64 exec, exec, s[4:5]
	s_mov_b32 s4, 0x8889
	v_mul_u32_u24_sdwa v25, v32, s4 dst_sel:DWORD dst_unused:UNUSED_PAD src0_sel:WORD_0 src1_sel:DWORD
	v_lshrrev_b32_e32 v60, 20, v25
	v_mul_lo_u16_e32 v25, 30, v60
	v_sub_u16_e32 v61, v32, v25
	v_mul_u32_u24_sdwa v25, v17, s4 dst_sel:DWORD dst_unused:UNUSED_PAD src0_sel:WORD_0 src1_sel:DWORD
	v_lshrrev_b32_e32 v25, 20, v25
	v_mul_lo_u16_e32 v26, 30, v25
	v_lshlrev_b32_e32 v30, 4, v61
	v_sub_u16_e32 v26, v17, v26
	v_lshlrev_b32_e32 v42, 4, v26
	global_load_dwordx4 v[34:37], v30, s[8:9] offset:160
	global_load_dwordx4 v[38:41], v42, s[8:9] offset:160
	v_mul_u32_u24_sdwa v30, v33, s4 dst_sel:DWORD dst_unused:UNUSED_PAD src0_sel:WORD_0 src1_sel:DWORD
	v_lshrrev_b32_e32 v51, 20, v30
	v_mul_lo_u16_e32 v30, 30, v51
	v_sub_u16_e32 v52, v33, v30
	v_lshlrev_b32_e32 v30, 4, v52
	s_movk_i32 s4, 0x89
	global_load_dwordx4 v[42:45], v30, s[8:9] offset:160
	v_mul_lo_u16_sdwa v30, v16, s4 dst_sel:DWORD dst_unused:UNUSED_PAD src0_sel:BYTE_0 src1_sel:DWORD
	v_lshrrev_b16_e32 v53, 12, v30
	v_mul_lo_u16_e32 v30, 30, v53
	v_sub_u16_e32 v54, v16, v30
	v_mov_b32_e32 v30, 4
	v_lshlrev_b32_sdwa v30, v30, v54 dst_sel:DWORD dst_unused:UNUSED_PAD src0_sel:DWORD src1_sel:BYTE_0
	global_load_dwordx4 v[46:49], v30, s[8:9] offset:160
	v_mov_b32_e32 v30, v27
	s_waitcnt lgkmcnt(0)
	v_mov_b32_e32 v50, v21
	v_mov_b32_e32 v21, 3
	v_mul_u32_u24_e32 v51, 0x2d0, v51
	v_lshlrev_b32_e32 v52, 3, v52
	v_mul_u32_u24_e32 v27, 0x2d0, v53
	v_lshlrev_b32_sdwa v21, v21, v54 dst_sel:DWORD dst_unused:UNUSED_PAD src0_sel:DWORD src1_sel:BYTE_0
	v_add3_u32 v62, 0, v51, v52
	v_add3_u32 v27, 0, v27, v21
	s_mov_b32 s4, 0x3f5db3d7
	s_barrier
	s_waitcnt vmcnt(3)
	v_pk_mul_f32 v[52:53], v[34:35], v[14:15] op_sel:[1,1] op_sel_hi:[0,1]
	s_waitcnt vmcnt(2)
	v_pk_mul_f32 v[54:55], v[30:31], v[38:39] op_sel_hi:[0,1]
	v_pk_mul_f32 v[50:51], v[50:51], v[40:41] op_sel_hi:[0,1]
	v_pk_fma_f32 v[56:57], v[24:25], v[38:39], v[54:55] op_sel:[0,0,1] op_sel_hi:[1,1,0] neg_lo:[0,0,1] neg_hi:[0,0,1]
	v_pk_fma_f32 v[38:39], v[24:25], v[38:39], v[54:55] op_sel:[0,0,1] op_sel_hi:[0,1,0]
	v_pk_fma_f32 v[54:55], v[20:21], v[40:41], v[50:51] op_sel:[0,0,1] op_sel_hi:[1,1,0] neg_lo:[0,0,1] neg_hi:[0,0,1]
	v_pk_fma_f32 v[20:21], v[20:21], v[40:41], v[50:51] op_sel:[0,0,1] op_sel_hi:[0,1,0]
	v_pk_mul_f32 v[40:41], v[36:37], v[28:29] op_sel:[0,1]
	s_waitcnt vmcnt(1)
	v_pk_mul_f32 v[50:51], v[42:43], v[12:13] op_sel:[0,1]
	v_pk_fma_f32 v[58:59], v[36:37], v[28:29], v[40:41] op_sel:[0,0,1] op_sel_hi:[1,1,0] neg_lo:[0,0,1] neg_hi:[0,0,1]
	v_pk_fma_f32 v[28:29], v[36:37], v[28:29], v[40:41] op_sel:[0,0,1] op_sel_hi:[1,0,0]
	v_pk_fma_f32 v[36:37], v[34:35], v[14:15], v[52:53] neg_lo:[0,0,1] neg_hi:[0,0,1]
	v_pk_fma_f32 v[14:15], v[34:35], v[14:15], v[52:53] op_sel_hi:[1,0,1]
	v_pk_mul_f32 v[34:35], v[44:45], v[10:11] op_sel:[0,1]
	v_pk_fma_f32 v[40:41], v[42:43], v[12:13], v[50:51] op_sel:[0,0,1] op_sel_hi:[1,1,0] neg_lo:[0,0,1] neg_hi:[0,0,1]
	v_pk_fma_f32 v[12:13], v[42:43], v[12:13], v[50:51] op_sel:[0,0,1] op_sel_hi:[1,0,0]
	s_waitcnt vmcnt(0)
	v_pk_mul_f32 v[42:43], v[46:47], v[2:3] op_sel:[0,1]
	v_pk_fma_f32 v[50:51], v[44:45], v[10:11], v[34:35] op_sel:[0,0,1] op_sel_hi:[1,1,0] neg_lo:[0,0,1] neg_hi:[0,0,1]
	v_pk_fma_f32 v[10:11], v[44:45], v[10:11], v[34:35] op_sel:[0,0,1] op_sel_hi:[1,0,0]
	v_pk_mul_f32 v[34:35], v[48:49], v[8:9] op_sel:[0,1]
	v_mov_b32_e32 v57, v39
	v_pk_fma_f32 v[44:45], v[48:49], v[8:9], v[34:35] op_sel:[0,0,1] op_sel_hi:[1,1,0] neg_lo:[0,0,1] neg_hi:[0,0,1]
	v_pk_fma_f32 v[8:9], v[48:49], v[8:9], v[34:35] op_sel:[0,0,1] op_sel_hi:[1,0,0]
	v_pk_fma_f32 v[34:35], v[46:47], v[2:3], v[42:43] op_sel:[0,0,1] op_sel_hi:[1,1,0] neg_lo:[0,0,1] neg_hi:[0,0,1]
	v_pk_fma_f32 v[2:3], v[46:47], v[2:3], v[42:43] op_sel:[0,0,1] op_sel_hi:[1,0,0]
	v_mov_b32_e32 v55, v21
	v_mov_b32_e32 v35, v3
	;; [unrolled: 1-line block ×6, first 2 shown]
	v_pk_add_f32 v[10:11], v[56:57], v[54:55]
	v_pk_add_f32 v[12:13], v[56:57], v[54:55] neg_lo:[0,1] neg_hi:[0,1]
	v_pk_add_f32 v[20:21], v[4:5], v[34:35]
	v_pk_add_f32 v[28:29], v[34:35], v[44:45]
	v_pk_add_f32 v[34:35], v[34:35], v[44:45] neg_lo:[0,1] neg_hi:[0,1]
	v_pk_add_f32 v[8:9], v[22:23], v[56:57]
	v_pk_fma_f32 v[10:11], v[10:11], 0.5, v[22:23] op_sel_hi:[1,0,1] neg_lo:[1,0,0] neg_hi:[1,0,0]
	v_pk_mul_f32 v[12:13], v[12:13], s[4:5] op_sel_hi:[1,0]
	v_pk_fma_f32 v[22:23], v[28:29], 0.5, v[4:5] op_sel_hi:[1,0,1] neg_lo:[1,0,0] neg_hi:[1,0,0]
	v_pk_mul_f32 v[28:29], v[34:35], s[4:5] op_sel_hi:[1,0]
	v_pk_add_f32 v[4:5], v[10:11], v[12:13] op_sel:[0,1] op_sel_hi:[1,0]
	v_pk_add_f32 v[10:11], v[10:11], v[12:13] op_sel:[0,1] op_sel_hi:[1,0] neg_lo:[0,1] neg_hi:[0,1]
	v_pk_add_f32 v[12:13], v[22:23], v[28:29] op_sel:[0,1] op_sel_hi:[1,0]
	v_pk_add_f32 v[22:23], v[22:23], v[28:29] op_sel:[0,1] op_sel_hi:[1,0] neg_lo:[0,1] neg_hi:[0,1]
	v_mov_b32_e32 v28, v12
	v_mov_b32_e32 v29, v23
	;; [unrolled: 1-line block ×3, first 2 shown]
	v_pk_add_f32 v[12:13], v[40:41], v[50:51]
	v_mov_b32_e32 v37, v15
	v_pk_add_f32 v[14:15], v[6:7], v[40:41]
	v_pk_fma_f32 v[6:7], v[12:13], 0.5, v[6:7] op_sel_hi:[1,0,1] neg_lo:[1,0,0] neg_hi:[1,0,0]
	v_pk_add_f32 v[12:13], v[40:41], v[50:51] neg_lo:[0,1] neg_hi:[0,1]
	v_pk_add_f32 v[20:21], v[20:21], v[44:45]
	v_pk_mul_f32 v[12:13], v[12:13], s[4:5] op_sel_hi:[1,0]
	ds_write2_b64 v27, v[20:21], v[28:29] offset1:30
	v_pk_add_f32 v[20:21], v[6:7], v[12:13] op_sel:[0,1] op_sel_hi:[1,0]
	v_pk_add_f32 v[6:7], v[6:7], v[12:13] op_sel:[0,1] op_sel_hi:[1,0] neg_lo:[0,1] neg_hi:[0,1]
	ds_write_b64 v27, v[22:23] offset:480
	v_mov_b32_e32 v13, v7
	v_mov_b32_e32 v7, v21
	ds_write_b64 v62, v[6:7] offset:480
	v_mul_u32_u24_e32 v6, 0x2d0, v60
	v_lshlrev_b32_e32 v7, 3, v61
	v_mov_b32_e32 v12, v20
	v_add3_u32 v20, 0, v6, v7
	v_pk_add_f32 v[6:7], v[36:37], v[58:59]
	v_pk_add_f32 v[2:3], v[0:1], v[36:37]
	v_pk_fma_f32 v[0:1], v[6:7], 0.5, v[0:1] op_sel_hi:[1,0,1] neg_lo:[1,0,0] neg_hi:[1,0,0]
	v_pk_add_f32 v[6:7], v[36:37], v[58:59] neg_lo:[0,1] neg_hi:[0,1]
	v_pk_add_f32 v[14:15], v[14:15], v[50:51]
	v_pk_mul_f32 v[6:7], v[6:7], s[4:5] op_sel_hi:[1,0]
	ds_write2_b64 v62, v[14:15], v[12:13] offset1:30
	v_pk_add_f32 v[12:13], v[0:1], v[6:7] op_sel:[0,1] op_sel_hi:[1,0]
	v_pk_add_f32 v[14:15], v[0:1], v[6:7] op_sel:[0,1] op_sel_hi:[1,0] neg_lo:[0,1] neg_hi:[0,1]
	v_pk_add_f32 v[2:3], v[2:3], v[58:59]
	v_mov_b32_e32 v0, v12
	v_mov_b32_e32 v1, v15
	v_pk_add_f32 v[8:9], v[8:9], v[54:55]
	ds_write2_b64 v20, v[2:3], v[0:1] offset1:30
	v_mov_b32_e32 v0, v14
	v_mov_b32_e32 v1, v13
	ds_write_b64 v20, v[0:1] offset:480
	s_and_saveexec_b64 s[4:5], s[2:3]
	s_cbranch_execz .LBB0_25
; %bb.24:
	v_mul_lo_u16_e32 v0, 0x5a, v25
	v_lshlrev_b32_e32 v1, 3, v26
	v_lshlrev_b32_e32 v0, 3, v0
	v_add3_u32 v6, 0, v1, v0
	v_mov_b32_e32 v0, v4
	v_mov_b32_e32 v1, v11
	ds_write2_b64 v6, v[8:9], v[0:1] offset1:30
	v_mov_b32_e32 v0, v10
	v_mov_b32_e32 v1, v5
	ds_write_b64 v6, v[0:1] offset:480
.LBB0_25:
	s_or_b64 exec, exec, s[4:5]
	s_waitcnt lgkmcnt(0)
	s_barrier
	ds_read_b64 v[0:1], v31
	ds_read_b64 v[26:27], v31 offset:2160
	ds_read_b64 v[24:25], v31 offset:4320
	;; [unrolled: 1-line block ×5, first 2 shown]
	s_movk_i32 s4, 0x6c
	v_cmp_gt_u32_e32 vcc, s4, v16
	s_and_saveexec_b64 s[4:5], vcc
	s_cbranch_execz .LBB0_27
; %bb.26:
	ds_read_b64 v[14:15], v31 offset:9936
	ds_read_b64 v[4:5], v31 offset:12096
	;; [unrolled: 1-line block ×6, first 2 shown]
	s_waitcnt lgkmcnt(4)
	v_mov_b32_e32 v10, v4
	v_mov_b32_e32 v11, v15
	;; [unrolled: 1-line block ×3, first 2 shown]
	s_waitcnt lgkmcnt(1)
	v_mov_b32_e32 v14, v12
	v_mov_b32_e32 v15, v29
	;; [unrolled: 1-line block ×3, first 2 shown]
.LBB0_27:
	s_or_b64 exec, exec, s[4:5]
	s_movk_i32 s4, 0x5a
	v_add_u32_e32 v28, 0xffffffa6, v16
	v_cmp_gt_u32_e64 s[4:5], s4, v16
	v_mov_b32_e32 v29, 0
	s_nop 0
	v_cndmask_b32_e64 v62, v28, v16, s[4:5]
	v_mul_i32_i24_e32 v28, 5, v62
	s_movk_i32 s4, 0x2d83
	v_lshl_add_u64 v[50:51], v[28:29], 3, s[8:9]
	v_mul_u32_u24_sdwa v28, v33, s4 dst_sel:DWORD dst_unused:UNUSED_PAD src0_sel:WORD_0 src1_sel:DWORD
	global_load_dwordx4 v[34:37], v[50:51], off offset:640
	global_load_dwordx4 v[38:41], v[50:51], off offset:656
	v_lshrrev_b32_e32 v28, 20, v28
	v_mul_lo_u16_e32 v29, 0x5a, v28
	v_sub_u16_e32 v29, v33, v29
	v_mul_u32_u24_e32 v30, 5, v29
	v_lshlrev_b32_e32 v30, 3, v30
	global_load_dwordx4 v[42:45], v30, s[8:9] offset:640
	global_load_dwordx4 v[46:49], v30, s[8:9] offset:656
	global_load_dwordx2 v[52:53], v30, s[8:9] offset:672
	global_load_dwordx2 v[54:55], v[50:51], off offset:672
	s_movk_i32 s4, 0x59
	v_mov_b32_e32 v30, v15
	v_mov_b32_e32 v50, v13
	v_cmp_lt_u32_e64 s[4:5], s4, v16
	s_waitcnt lgkmcnt(0)
	s_barrier
	s_waitcnt vmcnt(5)
	v_pk_mul_f32 v[56:57], v[34:35], v[26:27] op_sel:[0,1]
	v_pk_mul_f32 v[58:59], v[36:37], v[24:25] op_sel:[0,1]
	v_pk_fma_f32 v[60:61], v[34:35], v[26:27], v[56:57] op_sel:[0,0,1] op_sel_hi:[1,1,0] neg_lo:[0,0,1] neg_hi:[0,0,1]
	v_pk_fma_f32 v[26:27], v[34:35], v[26:27], v[56:57] op_sel:[0,0,1] op_sel_hi:[1,0,0]
	v_pk_fma_f32 v[34:35], v[36:37], v[24:25], v[58:59] op_sel:[0,0,1] op_sel_hi:[1,1,0] neg_lo:[0,0,1] neg_hi:[0,0,1]
	v_pk_fma_f32 v[24:25], v[36:37], v[24:25], v[58:59] op_sel:[0,0,1] op_sel_hi:[1,0,0]
	s_waitcnt vmcnt(4)
	v_pk_mul_f32 v[36:37], v[38:39], v[22:23] op_sel:[0,1]
	v_pk_mul_f32 v[56:57], v[40:41], v[20:21] op_sel:[0,1]
	v_pk_fma_f32 v[58:59], v[38:39], v[22:23], v[36:37] op_sel:[0,0,1] op_sel_hi:[1,1,0] neg_lo:[0,0,1] neg_hi:[0,0,1]
	v_pk_fma_f32 v[22:23], v[38:39], v[22:23], v[36:37] op_sel:[0,0,1] op_sel_hi:[1,0,0]
	v_pk_fma_f32 v[36:37], v[40:41], v[20:21], v[56:57] op_sel:[0,0,1] op_sel_hi:[1,1,0] neg_lo:[0,0,1] neg_hi:[0,0,1]
	v_pk_fma_f32 v[38:39], v[40:41], v[20:21], v[56:57] op_sel:[0,0,1] op_sel_hi:[1,0,0]
	v_mov_b32_e32 v20, v9
	v_mov_b32_e32 v22, v11
	;; [unrolled: 1-line block ×3, first 2 shown]
	v_cndmask_b32_e64 v9, 0, v9, s[4:5]
	v_lshlrev_b32_e32 v11, 3, v62
	v_mov_b32_e32 v24, v5
	v_mov_b32_e32 v61, v27
	;; [unrolled: 1-line block ×3, first 2 shown]
	s_waitcnt vmcnt(3)
	v_pk_mul_f32 v[26:27], v[30:31], v[42:43] op_sel_hi:[0,1]
	v_pk_mul_f32 v[40:41], v[50:51], v[44:45] op_sel_hi:[0,1]
	s_waitcnt vmcnt(2)
	v_pk_mul_f32 v[20:21], v[20:21], v[46:47] op_sel_hi:[0,1]
	v_pk_mul_f32 v[22:23], v[22:23], v[48:49] op_sel_hi:[0,1]
	v_add3_u32 v56, 0, v9, v11
	v_mov_b32_e32 v35, v25
	s_waitcnt vmcnt(1)
	v_pk_mul_f32 v[24:25], v[24:25], v[52:53] op_sel_hi:[0,1]
	v_pk_fma_f32 v[50:51], v[12:13], v[42:43], v[26:27] op_sel:[0,0,1] op_sel_hi:[1,1,0] neg_lo:[0,0,1] neg_hi:[0,0,1]
	v_pk_fma_f32 v[12:13], v[12:13], v[42:43], v[26:27] op_sel:[0,0,1] op_sel_hi:[0,1,0]
	v_pk_fma_f32 v[26:27], v[14:15], v[44:45], v[40:41] op_sel:[0,0,1] op_sel_hi:[1,1,0] neg_lo:[0,0,1] neg_hi:[0,0,1]
	v_pk_fma_f32 v[14:15], v[14:15], v[44:45], v[40:41] op_sel:[0,0,1] op_sel_hi:[0,1,0]
	;; [unrolled: 2-line block ×5, first 2 shown]
	v_mov_b32_e32 v27, v15
	v_mov_b32_e32 v21, v5
	;; [unrolled: 1-line block ×4, first 2 shown]
	v_pk_add_f32 v[4:5], v[2:3], v[26:27]
	v_pk_add_f32 v[10:11], v[26:27], v[20:21]
	v_pk_add_f32 v[12:13], v[26:27], v[20:21] neg_lo:[0,1] neg_hi:[0,1]
	s_waitcnt vmcnt(0)
	v_pk_mul_f32 v[26:27], v[54:55], v[6:7] op_sel:[0,1]
	v_mov_b32_e32 v37, v39
	v_pk_fma_f32 v[38:39], v[54:55], v[6:7], v[26:27] op_sel:[0,0,1] op_sel_hi:[1,1,0] neg_lo:[0,0,1] neg_hi:[0,0,1]
	v_pk_fma_f32 v[6:7], v[54:55], v[6:7], v[26:27] op_sel:[0,0,1] op_sel_hi:[1,0,0]
	v_pk_add_f32 v[42:43], v[34:35], v[36:37]
	v_mov_b32_e32 v39, v7
	s_mov_b32 s4, 0x3f5db3d7
	v_mov_b32_e32 v41, v9
	v_pk_add_f32 v[6:7], v[0:1], v[34:35]
	v_pk_add_f32 v[26:27], v[60:61], v[58:59]
	v_pk_fma_f32 v[0:1], v[42:43], 0.5, v[0:1] op_sel_hi:[1,0,1] neg_lo:[1,0,0] neg_hi:[1,0,0]
	v_pk_add_f32 v[42:43], v[58:59], v[38:39]
	s_mov_b32 s5, 0xbf5db3d7
	v_pk_add_f32 v[14:15], v[40:41], v[22:23]
	v_pk_add_f32 v[26:27], v[26:27], v[38:39]
	v_pk_add_f32 v[34:35], v[34:35], v[36:37] neg_lo:[0,1] neg_hi:[0,1]
	v_pk_fma_f32 v[42:43], v[42:43], 0.5, v[60:61] op_sel_hi:[1,0,1] neg_lo:[1,0,0] neg_hi:[1,0,0]
	v_pk_add_f32 v[38:39], v[58:59], v[38:39] neg_lo:[0,1] neg_hi:[0,1]
	v_pk_add_f32 v[8:9], v[50:51], v[40:41]
	v_pk_add_f32 v[24:25], v[40:41], v[22:23] neg_lo:[0,1] neg_hi:[0,1]
	v_pk_fma_f32 v[2:3], v[10:11], 0.5, v[2:3] op_sel_hi:[1,0,1] neg_lo:[1,0,0] neg_hi:[1,0,0]
	v_pk_mul_f32 v[12:13], v[12:13], s[4:5] op_sel_hi:[1,0]
	v_pk_fma_f32 v[14:15], v[14:15], 0.5, v[50:51] op_sel_hi:[1,0,1] neg_lo:[1,0,0] neg_hi:[1,0,0]
	v_pk_mul_f32 v[34:35], v[34:35], s[4:5] op_sel_hi:[1,0]
	v_pk_fma_f32 v[44:45], v[38:39], s[4:5], v[42:43] op_sel:[0,0,1] op_sel_hi:[1,0,0]
	v_pk_fma_f32 v[38:39], v[38:39], s[4:5], v[42:43] op_sel:[0,0,1] op_sel_hi:[1,0,0] neg_lo:[1,0,0] neg_hi:[1,0,0]
	v_pk_add_f32 v[8:9], v[8:9], v[22:23]
	v_pk_add_f32 v[10:11], v[12:13], v[2:3] op_sel:[1,0] op_sel_hi:[0,1]
	v_pk_add_f32 v[12:13], v[2:3], v[12:13] op_sel:[0,1] op_sel_hi:[1,0] neg_lo:[0,1] neg_hi:[0,1]
	v_pk_fma_f32 v[22:23], v[24:25], s[4:5], v[14:15] op_sel:[0,0,1] op_sel_hi:[1,0,0]
	v_pk_fma_f32 v[14:15], v[24:25], s[4:5], v[14:15] op_sel:[0,0,1] op_sel_hi:[1,0,0] neg_lo:[1,0,0] neg_hi:[1,0,0]
	v_pk_add_f32 v[6:7], v[6:7], v[36:37]
	v_pk_add_f32 v[36:37], v[34:35], v[0:1] op_sel:[1,0] op_sel_hi:[0,1]
	v_pk_add_f32 v[0:1], v[0:1], v[34:35] op_sel:[0,1] op_sel_hi:[1,0] neg_lo:[0,1] neg_hi:[0,1]
	v_mov_b32_e32 v42, v44
	v_mov_b32_e32 v43, v39
	v_mul_f32_e32 v30, 0xbf5db3d7, v45
	v_mov_b32_e32 v2, v12
	v_mov_b32_e32 v24, v22
	;; [unrolled: 1-line block ×3, first 2 shown]
	v_mul_f32_e32 v12, 0xbf5db3d7, v23
	v_mov_b32_e32 v34, v0
	v_mul_f32_e32 v0, 0x3f5db3d7, v38
	v_fmac_f32_e32 v30, 0.5, v38
	v_pk_mul_f32 v[38:39], v[42:43], 0.5 op_sel_hi:[1,0]
	v_mov_b32_e32 v3, v11
	v_mul_f32_e32 v11, 0x3f5db3d7, v14
	v_fmac_f32_e32 v12, 0.5, v14
	v_pk_mul_f32 v[14:15], v[24:25], 0.5 op_sel_hi:[1,0]
	v_mov_b32_e32 v35, v37
	v_pk_fma_f32 v[38:39], v[42:43], s[4:5], v[38:39] op_sel:[0,0,1] op_sel_hi:[1,1,0] neg_lo:[0,0,1] neg_hi:[0,0,1]
	v_pk_add_f32 v[4:5], v[4:5], v[20:21]
	v_fmac_f32_e32 v11, 0.5, v23
	v_pk_fma_f32 v[14:15], v[24:25], s[4:5], v[14:15] op_sel:[0,0,1] op_sel_hi:[1,1,0] neg_lo:[0,0,1] neg_hi:[0,0,1]
	v_pk_add_f32 v[40:41], v[6:7], v[26:27]
	v_fmac_f32_e32 v0, 0.5, v45
	v_pk_add_f32 v[42:43], v[34:35], v[38:39]
	v_pk_add_f32 v[6:7], v[6:7], v[26:27] neg_lo:[0,1] neg_hi:[0,1]
	v_add_u32_e32 v26, 0x400, v56
	v_pk_add_f32 v[20:21], v[4:5], v[8:9] neg_lo:[0,1] neg_hi:[0,1]
	v_sub_f32_e32 v22, v10, v11
	v_sub_f32_e32 v23, v13, v12
	v_pk_add_f32 v[24:25], v[2:3], v[14:15] neg_lo:[0,1] neg_hi:[0,1]
	v_add_f32_e32 v44, v36, v0
	v_add_f32_e32 v45, v1, v30
	v_sub_f32_e32 v0, v36, v0
	v_sub_f32_e32 v1, v1, v30
	ds_write2_b64 v26, v[42:43], v[6:7] offset0:52 offset1:142
	v_pk_add_f32 v[6:7], v[34:35], v[38:39] neg_lo:[0,1] neg_hi:[0,1]
	v_add_u32_e32 v26, 0x800, v56
	ds_write2_b64 v56, v[40:41], v[44:45] offset1:90
	ds_write2_b64 v26, v[0:1], v[6:7] offset0:104 offset1:194
	s_and_saveexec_b64 s[4:5], vcc
	s_cbranch_execz .LBB0_29
; %bb.28:
	v_mul_lo_u16_e32 v6, 0x21c, v28
	v_lshlrev_b32_e32 v7, 3, v29
	v_lshlrev_b32_e32 v6, 3, v6
	v_add_f32_e32 v1, v13, v12
	v_add_f32_e32 v0, v10, v11
	v_add3_u32 v6, 0, v7, v6
	v_pk_add_f32 v[4:5], v[4:5], v[8:9]
	ds_write2_b64 v6, v[4:5], v[0:1] offset1:90
	v_pk_add_f32 v[0:1], v[2:3], v[14:15]
	v_add_u32_e32 v2, 0x400, v6
	ds_write2_b64 v2, v[0:1], v[20:21] offset0:52 offset1:142
	v_add_u32_e32 v0, 0x800, v6
	ds_write2_b64 v0, v[22:23], v[24:25] offset0:104 offset1:194
.LBB0_29:
	s_or_b64 exec, exec, s[4:5]
	v_add_u32_e32 v30, 0xa00, v31
	v_add_u32_e32 v35, 0x2000, v31
	;; [unrolled: 1-line block ×3, first 2 shown]
	s_waitcnt lgkmcnt(0)
	s_barrier
	ds_read2_b64 v[4:7], v31 offset1:162
	ds_read2_b64 v[0:3], v30 offset0:4 offset1:220
	ds_read2_b64 v[12:15], v35 offset0:56 offset1:218
	;; [unrolled: 1-line block ×3, first 2 shown]
	ds_read_b64 v[28:29], v31 offset:11232
	s_and_saveexec_b64 s[4:5], s[2:3]
	s_cbranch_execz .LBB0_31
; %bb.30:
	ds_read_b64 v[20:21], v31 offset:3888
	ds_read_b64 v[22:23], v31 offset:8208
	;; [unrolled: 1-line block ×3, first 2 shown]
.LBB0_31:
	s_or_b64 exec, exec, s[4:5]
	v_lshlrev_b32_e32 v26, 1, v16
	v_mov_b32_e32 v27, 0
	v_lshl_add_u64 v[36:37], v[26:27], 3, s[8:9]
	v_lshlrev_b32_e32 v26, 1, v33
	v_add_co_u32_e32 v36, vcc, 0x1000, v36
	v_lshl_add_u64 v[40:41], v[26:27], 3, s[8:9]
	s_movk_i32 s4, 0x1000
	v_addc_co_u32_e32 v37, vcc, 0, v37, vcc
	v_add_co_u32_e32 v40, vcc, s4, v40
	v_lshlrev_b32_e32 v26, 1, v32
	s_nop 0
	v_addc_co_u32_e32 v41, vcc, 0, v41, vcc
	v_lshl_add_u64 v[32:33], v[26:27], 3, s[8:9]
	v_add_co_u32_e32 v32, vcc, s4, v32
	global_load_dwordx4 v[36:39], v[36:37], off offset:144
	s_nop 0
	v_addc_co_u32_e32 v33, vcc, 0, v33, vcc
	global_load_dwordx4 v[44:47], v[32:33], off offset:144
	s_mov_b32 s4, 0x3f5db3d7
	global_load_dwordx4 v[40:43], v[40:41], off offset:144
	s_waitcnt lgkmcnt(0)
	s_barrier
	s_waitcnt vmcnt(2)
	v_pk_mul_f32 v[32:33], v[36:37], v[2:3] op_sel:[0,1]
	v_pk_mul_f32 v[48:49], v[38:39], v[12:13] op_sel:[0,1]
	v_pk_fma_f32 v[54:55], v[36:37], v[2:3], v[32:33] op_sel:[0,0,1] op_sel_hi:[1,1,0] neg_lo:[0,0,1] neg_hi:[0,0,1]
	v_pk_fma_f32 v[2:3], v[36:37], v[2:3], v[32:33] op_sel:[0,0,1] op_sel_hi:[1,0,0]
	v_pk_fma_f32 v[32:33], v[38:39], v[12:13], v[48:49] op_sel:[0,0,1] op_sel_hi:[1,1,0] neg_lo:[0,0,1] neg_hi:[0,0,1]
	s_waitcnt vmcnt(0)
	v_pk_mul_f32 v[50:51], v[40:41], v[8:9] op_sel:[0,1]
	v_pk_mul_f32 v[52:53], v[42:43], v[14:15] op_sel:[0,1]
	v_pk_fma_f32 v[12:13], v[38:39], v[12:13], v[48:49] op_sel:[0,0,1] op_sel_hi:[1,0,0]
	v_pk_fma_f32 v[36:37], v[40:41], v[8:9], v[50:51] op_sel:[0,0,1] op_sel_hi:[1,1,0] neg_lo:[0,0,1] neg_hi:[0,0,1]
	v_pk_fma_f32 v[8:9], v[40:41], v[8:9], v[50:51] op_sel:[0,0,1] op_sel_hi:[1,0,0]
	v_pk_fma_f32 v[38:39], v[42:43], v[14:15], v[52:53] op_sel:[0,0,1] op_sel_hi:[1,1,0] neg_lo:[0,0,1] neg_hi:[0,0,1]
	v_pk_fma_f32 v[14:15], v[42:43], v[14:15], v[52:53] op_sel:[0,0,1] op_sel_hi:[1,0,0]
	v_pk_mul_f32 v[40:41], v[44:45], v[10:11] op_sel:[0,1]
	v_pk_mul_f32 v[42:43], v[46:47], v[28:29] op_sel:[0,1]
	v_mov_b32_e32 v55, v3
	v_mov_b32_e32 v33, v13
	;; [unrolled: 1-line block ×4, first 2 shown]
	v_pk_fma_f32 v[2:3], v[44:45], v[10:11], v[40:41] op_sel:[0,0,1] op_sel_hi:[1,1,0] neg_lo:[0,0,1] neg_hi:[0,0,1]
	v_pk_fma_f32 v[8:9], v[44:45], v[10:11], v[40:41] op_sel:[0,0,1] op_sel_hi:[1,0,0]
	v_pk_fma_f32 v[10:11], v[46:47], v[28:29], v[42:43] op_sel:[0,0,1] op_sel_hi:[1,1,0] neg_lo:[0,0,1] neg_hi:[0,0,1]
	v_pk_fma_f32 v[12:13], v[46:47], v[28:29], v[42:43] op_sel:[0,0,1] op_sel_hi:[1,0,0]
	v_pk_add_f32 v[14:15], v[4:5], v[54:55]
	v_pk_add_f32 v[28:29], v[6:7], v[36:37]
	v_mov_b32_e32 v3, v9
	v_mov_b32_e32 v11, v13
	v_pk_add_f32 v[8:9], v[54:55], v[32:33]
	v_pk_add_f32 v[12:13], v[54:55], v[32:33] neg_lo:[0,1] neg_hi:[0,1]
	v_pk_add_f32 v[40:41], v[36:37], v[38:39]
	v_pk_add_f32 v[36:37], v[36:37], v[38:39] neg_lo:[0,1] neg_hi:[0,1]
	v_pk_add_f32 v[14:15], v[14:15], v[32:33]
	v_pk_add_f32 v[32:33], v[0:1], v[2:3]
	v_pk_fma_f32 v[4:5], v[8:9], 0.5, v[4:5] op_sel_hi:[1,0,1] neg_lo:[1,0,0] neg_hi:[1,0,0]
	v_pk_mul_f32 v[8:9], v[12:13], s[4:5] op_sel_hi:[1,0]
	v_pk_fma_f32 v[6:7], v[40:41], 0.5, v[6:7] op_sel_hi:[1,0,1] neg_lo:[1,0,0] neg_hi:[1,0,0]
	v_pk_mul_f32 v[12:13], v[36:37], s[4:5] op_sel_hi:[1,0]
	v_pk_add_f32 v[36:37], v[2:3], v[10:11]
	v_pk_add_f32 v[2:3], v[2:3], v[10:11] neg_lo:[0,1] neg_hi:[0,1]
	v_pk_add_f32 v[28:29], v[28:29], v[38:39]
	v_pk_add_f32 v[10:11], v[32:33], v[10:11]
	v_pk_add_f32 v[32:33], v[4:5], v[8:9] op_sel:[0,1] op_sel_hi:[1,0]
	v_pk_add_f32 v[4:5], v[4:5], v[8:9] op_sel:[0,1] op_sel_hi:[1,0] neg_lo:[0,1] neg_hi:[0,1]
	v_pk_add_f32 v[8:9], v[6:7], v[12:13] op_sel:[0,1] op_sel_hi:[1,0]
	v_pk_add_f32 v[6:7], v[6:7], v[12:13] op_sel:[0,1] op_sel_hi:[1,0] neg_lo:[0,1] neg_hi:[0,1]
	v_pk_fma_f32 v[0:1], v[36:37], 0.5, v[0:1] op_sel_hi:[1,0,1] neg_lo:[1,0,0] neg_hi:[1,0,0]
	v_pk_mul_f32 v[2:3], v[2:3], s[4:5] op_sel_hi:[1,0]
	ds_write2_b64 v31, v[14:15], v[28:29] offset1:162
	v_mov_b32_e32 v14, v8
	v_mov_b32_e32 v15, v7
	;; [unrolled: 1-line block ×3, first 2 shown]
	v_pk_add_f32 v[8:9], v[0:1], v[2:3] op_sel:[0,1] op_sel_hi:[1,0]
	v_pk_add_f32 v[0:1], v[0:1], v[2:3] op_sel:[0,1] op_sel_hi:[1,0] neg_lo:[0,1] neg_hi:[0,1]
	v_mov_b32_e32 v13, v5
	v_mov_b32_e32 v5, v33
	;; [unrolled: 1-line block ×5, first 2 shown]
	ds_write2_b64 v35, v[4:5], v[6:7] offset0:56 offset1:218
	ds_write2_b64 v30, v[10:11], v[12:13] offset0:4 offset1:220
	v_mov_b32_e32 v1, v9
	ds_write2_b64 v34, v[14:15], v[2:3] offset0:62 offset1:224
	ds_write_b64 v31, v[0:1] offset:11232
	s_and_saveexec_b64 s[6:7], s[2:3]
	s_cbranch_execz .LBB0_33
; %bb.32:
	v_subrev_u32_e32 v0, 54, v16
	v_cndmask_b32_e64 v0, v0, v17, s[2:3]
	v_lshlrev_b32_e32 v26, 1, v0
	v_lshl_add_u64 v[0:1], v[26:27], 3, s[8:9]
	v_add_co_u32_e32 v0, vcc, 0x1000, v0
	v_mov_b32_e32 v4, v23
	s_nop 0
	v_addc_co_u32_e32 v1, vcc, 0, v1, vcc
	global_load_dwordx4 v[0:3], v[0:1], off offset:144
	s_waitcnt vmcnt(0)
	v_pk_mul_f32 v[4:5], v[4:5], v[0:1] op_sel_hi:[0,1]
	v_pk_mul_f32 v[6:7], v[24:25], v[2:3] op_sel:[1,0]
	v_pk_fma_f32 v[8:9], v[22:23], v[0:1], v[4:5] op_sel:[0,0,1] op_sel_hi:[1,1,0] neg_lo:[0,0,1] neg_hi:[0,0,1]
	v_pk_fma_f32 v[0:1], v[22:23], v[0:1], v[4:5] op_sel:[0,0,1] op_sel_hi:[0,1,0]
	v_pk_fma_f32 v[4:5], v[24:25], v[2:3], v[6:7] op_sel:[0,0,1] op_sel_hi:[1,1,0] neg_lo:[0,0,1] neg_hi:[0,0,1]
	v_pk_fma_f32 v[2:3], v[24:25], v[2:3], v[6:7] op_sel:[0,0,1] op_sel_hi:[0,1,0]
	v_mov_b32_e32 v9, v1
	v_mov_b32_e32 v5, v3
	v_pk_add_f32 v[0:1], v[20:21], v[8:9]
	v_pk_add_f32 v[2:3], v[8:9], v[4:5]
	v_pk_add_f32 v[6:7], v[8:9], v[4:5] neg_lo:[0,1] neg_hi:[0,1]
	v_pk_add_f32 v[0:1], v[0:1], v[4:5]
	v_pk_fma_f32 v[2:3], -0.5, v[2:3], v[20:21] op_sel_hi:[0,1,1]
	v_pk_mul_f32 v[4:5], v[6:7], s[4:5] op_sel_hi:[1,0]
	ds_write_b64 v31, v[0:1] offset:3888
	v_pk_add_f32 v[0:1], v[2:3], v[4:5] op_sel:[0,1] op_sel_hi:[1,0]
	v_pk_add_f32 v[2:3], v[2:3], v[4:5] op_sel:[0,1] op_sel_hi:[1,0] neg_lo:[0,1] neg_hi:[0,1]
	v_mov_b32_e32 v4, v0
	v_mov_b32_e32 v5, v3
	;; [unrolled: 1-line block ×3, first 2 shown]
	ds_write_b64 v31, v[4:5] offset:8208
	ds_write_b64 v31, v[2:3] offset:12528
.LBB0_33:
	s_or_b64 exec, exec, s[6:7]
	s_waitcnt lgkmcnt(0)
	s_barrier
	s_and_saveexec_b64 s[2:3], s[0:1]
	s_cbranch_execz .LBB0_35
; %bb.34:
	v_lshl_add_u32 v8, v16, 3, 0
	ds_read2_b64 v[0:3], v8 offset1:162
	v_mov_b32_e32 v17, 0
	v_add_u32_e32 v4, 0xa2, v16
	v_lshl_add_u64 v[6:7], v[16:17], 3, v[18:19]
	v_mov_b32_e32 v5, v17
	s_waitcnt lgkmcnt(0)
	global_store_dwordx2 v[6:7], v[0:1], off
	v_lshl_add_u64 v[0:1], v[4:5], 3, v[18:19]
	v_add_u32_e32 v4, 0x800, v8
	ds_read2_b64 v[4:7], v4 offset0:68 offset1:230
	global_store_dwordx2 v[0:1], v[2:3], off
	v_add_u32_e32 v0, 0x144, v16
	v_mov_b32_e32 v1, v17
	v_lshl_add_u64 v[0:1], v[0:1], 3, v[18:19]
	s_waitcnt lgkmcnt(0)
	global_store_dwordx2 v[0:1], v[4:5], off
	v_add_u32_e32 v0, 0x1e6, v16
	v_mov_b32_e32 v1, v17
	v_lshl_add_u64 v[4:5], v[0:1], 3, v[18:19]
	v_add_u32_e32 v0, 0x1400, v8
	ds_read2_b64 v[0:3], v0 offset0:8 offset1:170
	global_store_dwordx2 v[4:5], v[6:7], off
	v_add_u32_e32 v4, 0x288, v16
	v_mov_b32_e32 v5, v17
	v_lshl_add_u64 v[4:5], v[4:5], 3, v[18:19]
	s_waitcnt lgkmcnt(0)
	global_store_dwordx2 v[4:5], v[0:1], off
	v_add_u32_e32 v4, 0x1c00, v8
	ds_read2_b64 v[4:7], v4 offset0:76 offset1:238
	v_add_u32_e32 v0, 0x32a, v16
	v_mov_b32_e32 v1, v17
	v_lshl_add_u64 v[0:1], v[0:1], 3, v[18:19]
	global_store_dwordx2 v[0:1], v[2:3], off
	v_add_u32_e32 v0, 0x3cc, v16
	v_mov_b32_e32 v1, v17
	v_lshl_add_u64 v[0:1], v[0:1], 3, v[18:19]
	s_waitcnt lgkmcnt(0)
	global_store_dwordx2 v[0:1], v[4:5], off
	v_add_u32_e32 v0, 0x46e, v16
	v_mov_b32_e32 v1, v17
	v_lshl_add_u64 v[4:5], v[0:1], 3, v[18:19]
	v_add_u32_e32 v0, 0x2800, v8
	ds_read2_b64 v[0:3], v0 offset0:16 offset1:178
	global_store_dwordx2 v[4:5], v[6:7], off
	v_add_u32_e32 v4, 0x510, v16
	v_mov_b32_e32 v5, v17
	v_lshl_add_u64 v[4:5], v[4:5], 3, v[18:19]
	v_add_u32_e32 v16, 0x5b2, v16
	s_waitcnt lgkmcnt(0)
	global_store_dwordx2 v[4:5], v[0:1], off
	v_lshl_add_u64 v[0:1], v[16:17], 3, v[18:19]
	global_store_dwordx2 v[0:1], v[2:3], off
.LBB0_35:
	s_endpgm
	.section	.rodata,"a",@progbits
	.p2align	6, 0x0
	.amdhsa_kernel fft_rtc_fwd_len1620_factors_10_3_3_6_3_wgs_162_tpt_162_halfLds_sp_ip_CI_unitstride_sbrr_C2R_dirReg
		.amdhsa_group_segment_fixed_size 0
		.amdhsa_private_segment_fixed_size 0
		.amdhsa_kernarg_size 88
		.amdhsa_user_sgpr_count 2
		.amdhsa_user_sgpr_dispatch_ptr 0
		.amdhsa_user_sgpr_queue_ptr 0
		.amdhsa_user_sgpr_kernarg_segment_ptr 1
		.amdhsa_user_sgpr_dispatch_id 0
		.amdhsa_user_sgpr_kernarg_preload_length 0
		.amdhsa_user_sgpr_kernarg_preload_offset 0
		.amdhsa_user_sgpr_private_segment_size 0
		.amdhsa_uses_dynamic_stack 0
		.amdhsa_enable_private_segment 0
		.amdhsa_system_sgpr_workgroup_id_x 1
		.amdhsa_system_sgpr_workgroup_id_y 0
		.amdhsa_system_sgpr_workgroup_id_z 0
		.amdhsa_system_sgpr_workgroup_info 0
		.amdhsa_system_vgpr_workitem_id 0
		.amdhsa_next_free_vgpr 64
		.amdhsa_next_free_sgpr 22
		.amdhsa_accum_offset 64
		.amdhsa_reserve_vcc 1
		.amdhsa_float_round_mode_32 0
		.amdhsa_float_round_mode_16_64 0
		.amdhsa_float_denorm_mode_32 3
		.amdhsa_float_denorm_mode_16_64 3
		.amdhsa_dx10_clamp 1
		.amdhsa_ieee_mode 1
		.amdhsa_fp16_overflow 0
		.amdhsa_tg_split 0
		.amdhsa_exception_fp_ieee_invalid_op 0
		.amdhsa_exception_fp_denorm_src 0
		.amdhsa_exception_fp_ieee_div_zero 0
		.amdhsa_exception_fp_ieee_overflow 0
		.amdhsa_exception_fp_ieee_underflow 0
		.amdhsa_exception_fp_ieee_inexact 0
		.amdhsa_exception_int_div_zero 0
	.end_amdhsa_kernel
	.text
.Lfunc_end0:
	.size	fft_rtc_fwd_len1620_factors_10_3_3_6_3_wgs_162_tpt_162_halfLds_sp_ip_CI_unitstride_sbrr_C2R_dirReg, .Lfunc_end0-fft_rtc_fwd_len1620_factors_10_3_3_6_3_wgs_162_tpt_162_halfLds_sp_ip_CI_unitstride_sbrr_C2R_dirReg
                                        ; -- End function
	.section	.AMDGPU.csdata,"",@progbits
; Kernel info:
; codeLenInByte = 7836
; NumSgprs: 28
; NumVgprs: 64
; NumAgprs: 0
; TotalNumVgprs: 64
; ScratchSize: 0
; MemoryBound: 0
; FloatMode: 240
; IeeeMode: 1
; LDSByteSize: 0 bytes/workgroup (compile time only)
; SGPRBlocks: 3
; VGPRBlocks: 7
; NumSGPRsForWavesPerEU: 28
; NumVGPRsForWavesPerEU: 64
; AccumOffset: 64
; Occupancy: 8
; WaveLimiterHint : 1
; COMPUTE_PGM_RSRC2:SCRATCH_EN: 0
; COMPUTE_PGM_RSRC2:USER_SGPR: 2
; COMPUTE_PGM_RSRC2:TRAP_HANDLER: 0
; COMPUTE_PGM_RSRC2:TGID_X_EN: 1
; COMPUTE_PGM_RSRC2:TGID_Y_EN: 0
; COMPUTE_PGM_RSRC2:TGID_Z_EN: 0
; COMPUTE_PGM_RSRC2:TIDIG_COMP_CNT: 0
; COMPUTE_PGM_RSRC3_GFX90A:ACCUM_OFFSET: 15
; COMPUTE_PGM_RSRC3_GFX90A:TG_SPLIT: 0
	.text
	.p2alignl 6, 3212836864
	.fill 256, 4, 3212836864
	.type	__hip_cuid_ee59cfe0da289eb9,@object ; @__hip_cuid_ee59cfe0da289eb9
	.section	.bss,"aw",@nobits
	.globl	__hip_cuid_ee59cfe0da289eb9
__hip_cuid_ee59cfe0da289eb9:
	.byte	0                               ; 0x0
	.size	__hip_cuid_ee59cfe0da289eb9, 1

	.ident	"AMD clang version 19.0.0git (https://github.com/RadeonOpenCompute/llvm-project roc-6.4.0 25133 c7fe45cf4b819c5991fe208aaa96edf142730f1d)"
	.section	".note.GNU-stack","",@progbits
	.addrsig
	.addrsig_sym __hip_cuid_ee59cfe0da289eb9
	.amdgpu_metadata
---
amdhsa.kernels:
  - .agpr_count:     0
    .args:
      - .actual_access:  read_only
        .address_space:  global
        .offset:         0
        .size:           8
        .value_kind:     global_buffer
      - .offset:         8
        .size:           8
        .value_kind:     by_value
      - .actual_access:  read_only
        .address_space:  global
        .offset:         16
        .size:           8
        .value_kind:     global_buffer
      - .actual_access:  read_only
        .address_space:  global
        .offset:         24
        .size:           8
        .value_kind:     global_buffer
      - .offset:         32
        .size:           8
        .value_kind:     by_value
      - .actual_access:  read_only
        .address_space:  global
        .offset:         40
        .size:           8
        .value_kind:     global_buffer
      - .actual_access:  read_only
        .address_space:  global
        .offset:         48
        .size:           8
        .value_kind:     global_buffer
      - .offset:         56
        .size:           4
        .value_kind:     by_value
      - .actual_access:  read_only
        .address_space:  global
        .offset:         64
        .size:           8
        .value_kind:     global_buffer
      - .actual_access:  read_only
        .address_space:  global
        .offset:         72
        .size:           8
        .value_kind:     global_buffer
      - .address_space:  global
        .offset:         80
        .size:           8
        .value_kind:     global_buffer
    .group_segment_fixed_size: 0
    .kernarg_segment_align: 8
    .kernarg_segment_size: 88
    .language:       OpenCL C
    .language_version:
      - 2
      - 0
    .max_flat_workgroup_size: 162
    .name:           fft_rtc_fwd_len1620_factors_10_3_3_6_3_wgs_162_tpt_162_halfLds_sp_ip_CI_unitstride_sbrr_C2R_dirReg
    .private_segment_fixed_size: 0
    .sgpr_count:     28
    .sgpr_spill_count: 0
    .symbol:         fft_rtc_fwd_len1620_factors_10_3_3_6_3_wgs_162_tpt_162_halfLds_sp_ip_CI_unitstride_sbrr_C2R_dirReg.kd
    .uniform_work_group_size: 1
    .uses_dynamic_stack: false
    .vgpr_count:     64
    .vgpr_spill_count: 0
    .wavefront_size: 64
amdhsa.target:   amdgcn-amd-amdhsa--gfx950
amdhsa.version:
  - 1
  - 2
...

	.end_amdgpu_metadata
